;; amdgpu-corpus repo=ROCm/rocFFT kind=compiled arch=gfx906 opt=O3
	.text
	.amdgcn_target "amdgcn-amd-amdhsa--gfx906"
	.amdhsa_code_object_version 6
	.protected	bluestein_single_back_len374_dim1_half_op_CI_CI ; -- Begin function bluestein_single_back_len374_dim1_half_op_CI_CI
	.globl	bluestein_single_back_len374_dim1_half_op_CI_CI
	.p2align	8
	.type	bluestein_single_back_len374_dim1_half_op_CI_CI,@function
bluestein_single_back_len374_dim1_half_op_CI_CI: ; @bluestein_single_back_len374_dim1_half_op_CI_CI
; %bb.0:
	v_mul_u32_u24_e32 v1, 0x788, v0
	s_load_dwordx4 s[0:3], s[4:5], 0x28
	v_lshrrev_b32_e32 v1, 16, v1
	v_mad_u64_u32 v[8:9], s[6:7], s6, 7, v[1:2]
	v_mov_b32_e32 v9, 0
	s_waitcnt lgkmcnt(0)
	v_cmp_gt_u64_e32 vcc, s[0:1], v[8:9]
	s_and_saveexec_b64 s[0:1], vcc
	s_cbranch_execz .LBB0_23
; %bb.1:
	s_mov_b32 s0, 0x24924925
	v_mul_hi_u32 v2, v8, s0
	s_load_dwordx2 s[6:7], s[4:5], 0x0
	s_load_dwordx2 s[12:13], s[4:5], 0x38
	v_mul_lo_u16_e32 v1, 34, v1
	v_sub_u16_e32 v27, v0, v1
	v_sub_u32_e32 v3, v8, v2
	v_lshrrev_b32_e32 v3, 1, v3
	v_add_u32_e32 v2, v3, v2
	v_lshrrev_b32_e32 v2, 2, v2
	v_mul_lo_u32 v2, v2, 7
	v_cmp_gt_u16_e32 vcc, 22, v27
	v_lshlrev_b32_e32 v28, 2, v27
	v_sub_u32_e32 v0, v8, v2
	v_mul_u32_u24_e32 v23, 0x176, v0
	v_lshlrev_b32_e32 v29, 2, v23
	s_and_saveexec_b64 s[14:15], vcc
	s_cbranch_execz .LBB0_3
; %bb.2:
	s_load_dwordx2 s[0:1], s[4:5], 0x18
	v_lshl_add_u32 v13, v27, 2, v29
	v_add_u32_e32 v14, v29, v28
	s_waitcnt lgkmcnt(0)
	s_load_dwordx4 s[8:11], s[0:1], 0x0
	s_waitcnt lgkmcnt(0)
	v_mad_u64_u32 v[0:1], s[0:1], s10, v8, 0
	v_mad_u64_u32 v[2:3], s[0:1], s8, v27, 0
	;; [unrolled: 1-line block ×4, first 2 shown]
	v_mov_b32_e32 v1, v4
	v_lshlrev_b64 v[0:1], 2, v[0:1]
	v_mov_b32_e32 v3, v5
	v_mov_b32_e32 v6, s3
	v_lshlrev_b64 v[2:3], 2, v[2:3]
	v_add_co_u32_e64 v5, s[0:1], s2, v0
	v_addc_co_u32_e64 v6, s[0:1], v6, v1, s[0:1]
	v_add_co_u32_e64 v0, s[0:1], v5, v2
	v_addc_co_u32_e64 v1, s[0:1], v6, v3, s[0:1]
	s_mul_i32 s0, s9, 0x58
	s_mul_hi_u32 s3, s8, 0x58
	s_add_i32 s3, s3, s0
	s_mul_i32 s2, s8, 0x58
	v_mov_b32_e32 v3, s3
	v_add_co_u32_e64 v2, s[0:1], s2, v0
	v_addc_co_u32_e64 v3, s[0:1], v1, v3, s[0:1]
	global_load_dword v4, v[0:1], off
	global_load_dword v7, v[2:3], off
	global_load_dword v9, v28, s[6:7]
	global_load_dword v10, v28, s[6:7] offset:88
	v_mov_b32_e32 v1, s3
	v_add_co_u32_e64 v0, s[0:1], s2, v2
	v_addc_co_u32_e64 v1, s[0:1], v3, v1, s[0:1]
	global_load_dword v2, v[0:1], off
	global_load_dword v3, v28, s[6:7] offset:176
	v_mov_b32_e32 v11, s3
	v_add_co_u32_e64 v0, s[0:1], s2, v0
	v_addc_co_u32_e64 v1, s[0:1], v1, v11, s[0:1]
	global_load_dword v11, v[0:1], off
	global_load_dword v12, v28, s[6:7] offset:264
	v_mov_b32_e32 v19, s3
	v_add_co_u32_e64 v0, s[0:1], s2, v0
	v_addc_co_u32_e64 v1, s[0:1], v1, v19, s[0:1]
	global_load_dword v15, v28, s[6:7] offset:352
	global_load_dword v16, v28, s[6:7] offset:440
	;; [unrolled: 1-line block ×4, first 2 shown]
	global_load_dword v19, v[0:1], off
	v_mov_b32_e32 v20, s3
	v_add_co_u32_e64 v0, s[0:1], s2, v0
	v_addc_co_u32_e64 v1, s[0:1], v1, v20, s[0:1]
	global_load_dword v20, v[0:1], off
	v_mov_b32_e32 v21, s3
	v_add_co_u32_e64 v0, s[0:1], s2, v0
	v_addc_co_u32_e64 v1, s[0:1], v1, v21, s[0:1]
	;; [unrolled: 4-line block ×3, first 2 shown]
	v_mov_b32_e32 v24, s3
	global_load_dword v22, v[0:1], off
	v_add_co_u32_e64 v0, s[0:1], s2, v0
	v_addc_co_u32_e64 v1, s[0:1], v1, v24, s[0:1]
	v_mov_b32_e32 v33, s3
	s_waitcnt vmcnt(15)
	v_lshrrev_b32_e32 v25, 16, v4
	s_waitcnt vmcnt(13)
	v_mul_f16_sdwa v26, v9, v4 dst_sel:DWORD dst_unused:UNUSED_PAD src0_sel:WORD_1 src1_sel:DWORD
	v_mul_f16_sdwa v30, v9, v25 dst_sel:DWORD dst_unused:UNUSED_PAD src0_sel:WORD_1 src1_sel:DWORD
	v_fma_f16 v25, v9, v25, -v26
	v_lshrrev_b32_e32 v26, 16, v7
	s_waitcnt vmcnt(12)
	v_mul_f16_sdwa v31, v10, v7 dst_sel:DWORD dst_unused:UNUSED_PAD src0_sel:WORD_1 src1_sel:DWORD
	v_fma_f16 v4, v9, v4, v30
	v_mul_f16_sdwa v9, v10, v26 dst_sel:DWORD dst_unused:UNUSED_PAD src0_sel:WORD_1 src1_sel:DWORD
	s_waitcnt vmcnt(11)
	v_lshrrev_b32_e32 v30, 16, v2
	v_fma_f16 v26, v10, v26, -v31
	s_waitcnt vmcnt(10)
	v_mul_f16_sdwa v31, v3, v2 dst_sel:DWORD dst_unused:UNUSED_PAD src0_sel:WORD_1 src1_sel:DWORD
	v_fma_f16 v7, v10, v7, v9
	v_mul_f16_sdwa v9, v3, v30 dst_sel:DWORD dst_unused:UNUSED_PAD src0_sel:WORD_1 src1_sel:DWORD
	v_pack_b32_f16 v4, v4, v25
	v_fma_f16 v10, v3, v30, -v31
	v_fma_f16 v2, v3, v2, v9
	ds_write_b32 v13, v4
	v_pack_b32_f16 v4, v7, v26
	v_pack_b32_f16 v2, v2, v10
	s_waitcnt vmcnt(9)
	v_lshrrev_b32_e32 v25, 16, v11
	ds_write2_b32 v14, v4, v2 offset0:22 offset1:44
	global_load_dword v9, v[0:1], off
	v_mov_b32_e32 v2, s3
	v_add_co_u32_e64 v0, s[0:1], s2, v0
	s_waitcnt vmcnt(9)
	v_mul_f16_sdwa v3, v12, v25 dst_sel:DWORD dst_unused:UNUSED_PAD src0_sel:WORD_1 src1_sel:DWORD
	v_addc_co_u32_e64 v1, s[0:1], v1, v2, s[0:1]
	v_mul_f16_sdwa v30, v12, v11 dst_sel:DWORD dst_unused:UNUSED_PAD src0_sel:WORD_1 src1_sel:DWORD
	v_fma_f16 v3, v12, v11, v3
	global_load_dword v10, v[0:1], off
	global_load_dword v11, v28, s[6:7] offset:704
	v_add_co_u32_e64 v0, s[0:1], s2, v0
	v_addc_co_u32_e64 v1, s[0:1], v1, v2, s[0:1]
	v_fma_f16 v7, v12, v25, -v30
	global_load_dword v12, v[0:1], off
	v_add_co_u32_e64 v0, s[0:1], s2, v0
	v_addc_co_u32_e64 v1, s[0:1], v1, v2, s[0:1]
	global_load_dword v13, v28, s[6:7] offset:792
	global_load_dword v24, v[0:1], off
	global_load_dword v25, v28, s[6:7] offset:880
	v_add_co_u32_e64 v0, s[0:1], s2, v0
	v_addc_co_u32_e64 v1, s[0:1], v1, v2, s[0:1]
	global_load_dword v26, v[0:1], off
	global_load_dword v30, v28, s[6:7] offset:968
	global_load_dword v31, v28, s[6:7] offset:1056
	v_add_co_u32_e64 v0, s[0:1], s2, v0
	v_addc_co_u32_e64 v1, s[0:1], v1, v2, s[0:1]
	global_load_dword v32, v[0:1], off
	v_add_co_u32_e64 v0, s[0:1], s2, v0
	v_or_b32_e32 v4, 0x160, v27
	v_pack_b32_f16 v7, v3, v7
	v_addc_co_u32_e64 v1, s[0:1], v1, v2, s[0:1]
	v_mad_u64_u32 v[2:3], s[0:1], s8, v4, 0
	global_load_dword v34, v[0:1], off
	global_load_dword v35, v28, s[6:7] offset:1144
	v_mad_u64_u32 v[3:4], s[0:1], s9, v4, v[3:4]
	global_load_dword v4, v28, s[6:7] offset:1232
	v_add_co_u32_e64 v0, s[0:1], s2, v0
	v_addc_co_u32_e64 v1, s[0:1], v1, v33, s[0:1]
	global_load_dword v33, v[0:1], off
	global_load_dword v36, v28, s[6:7] offset:1320
	v_lshlrev_b64 v[0:1], 2, v[2:3]
	s_waitcnt vmcnt(19)
	v_lshrrev_b32_e32 v2, 16, v19
	v_add_co_u32_e64 v0, s[0:1], v5, v0
	v_addc_co_u32_e64 v1, s[0:1], v6, v1, s[0:1]
	global_load_dword v5, v[0:1], off
	global_load_dword v6, v28, s[6:7] offset:1408
	v_mul_f16_sdwa v3, v15, v2 dst_sel:DWORD dst_unused:UNUSED_PAD src0_sel:WORD_1 src1_sel:DWORD
	v_mul_f16_sdwa v1, v15, v19 dst_sel:DWORD dst_unused:UNUSED_PAD src0_sel:WORD_1 src1_sel:DWORD
	v_fma_f16 v0, v15, v19, v3
	v_fma_f16 v1, v15, v2, -v1
	v_pack_b32_f16 v0, v0, v1
	ds_write2_b32 v14, v7, v0 offset0:66 offset1:88
	s_waitcnt vmcnt(20)
	v_lshrrev_b32_e32 v0, 16, v20
	v_mul_f16_sdwa v1, v16, v0 dst_sel:DWORD dst_unused:UNUSED_PAD src0_sel:WORD_1 src1_sel:DWORD
	v_mul_f16_sdwa v2, v16, v20 dst_sel:DWORD dst_unused:UNUSED_PAD src0_sel:WORD_1 src1_sel:DWORD
	v_fma_f16 v1, v16, v20, v1
	v_fma_f16 v0, v16, v0, -v2
	v_pack_b32_f16 v0, v1, v0
	s_waitcnt vmcnt(19)
	v_lshrrev_b32_e32 v1, 16, v21
	v_mul_f16_sdwa v2, v17, v1 dst_sel:DWORD dst_unused:UNUSED_PAD src0_sel:WORD_1 src1_sel:DWORD
	v_mul_f16_sdwa v3, v17, v21 dst_sel:DWORD dst_unused:UNUSED_PAD src0_sel:WORD_1 src1_sel:DWORD
	v_fma_f16 v2, v17, v21, v2
	v_fma_f16 v1, v17, v1, -v3
	v_pack_b32_f16 v1, v2, v1
	ds_write2_b32 v14, v0, v1 offset0:110 offset1:132
	s_waitcnt vmcnt(18)
	v_lshrrev_b32_e32 v0, 16, v22
	v_mul_f16_sdwa v1, v18, v0 dst_sel:DWORD dst_unused:UNUSED_PAD src0_sel:WORD_1 src1_sel:DWORD
	v_mul_f16_sdwa v2, v18, v22 dst_sel:DWORD dst_unused:UNUSED_PAD src0_sel:WORD_1 src1_sel:DWORD
	v_fma_f16 v1, v18, v22, v1
	v_fma_f16 v0, v18, v0, -v2
	v_pack_b32_f16 v0, v1, v0
	s_waitcnt vmcnt(17)
	v_lshrrev_b32_e32 v1, 16, v9
	s_waitcnt vmcnt(15)
	v_mul_f16_sdwa v2, v11, v1 dst_sel:DWORD dst_unused:UNUSED_PAD src0_sel:WORD_1 src1_sel:DWORD
	v_mul_f16_sdwa v3, v11, v9 dst_sel:DWORD dst_unused:UNUSED_PAD src0_sel:WORD_1 src1_sel:DWORD
	v_fma_f16 v2, v11, v9, v2
	v_fma_f16 v1, v11, v1, -v3
	v_pack_b32_f16 v1, v2, v1
	ds_write2_b32 v14, v0, v1 offset0:154 offset1:176
	v_lshrrev_b32_e32 v0, 16, v10
	s_waitcnt vmcnt(13)
	v_mul_f16_sdwa v1, v13, v0 dst_sel:DWORD dst_unused:UNUSED_PAD src0_sel:WORD_1 src1_sel:DWORD
	v_mul_f16_sdwa v2, v13, v10 dst_sel:DWORD dst_unused:UNUSED_PAD src0_sel:WORD_1 src1_sel:DWORD
	v_fma_f16 v1, v13, v10, v1
	v_fma_f16 v0, v13, v0, -v2
	v_pack_b32_f16 v0, v1, v0
	v_lshrrev_b32_e32 v1, 16, v12
	s_waitcnt vmcnt(11)
	v_mul_f16_sdwa v2, v25, v1 dst_sel:DWORD dst_unused:UNUSED_PAD src0_sel:WORD_1 src1_sel:DWORD
	v_mul_f16_sdwa v3, v25, v12 dst_sel:DWORD dst_unused:UNUSED_PAD src0_sel:WORD_1 src1_sel:DWORD
	v_fma_f16 v2, v25, v12, v2
	v_fma_f16 v1, v25, v1, -v3
	v_pack_b32_f16 v1, v2, v1
	ds_write2_b32 v14, v0, v1 offset0:198 offset1:220
	v_lshrrev_b32_e32 v0, 16, v24
	s_waitcnt vmcnt(9)
	v_mul_f16_sdwa v1, v30, v0 dst_sel:DWORD dst_unused:UNUSED_PAD src0_sel:WORD_1 src1_sel:DWORD
	v_mul_f16_sdwa v2, v30, v24 dst_sel:DWORD dst_unused:UNUSED_PAD src0_sel:WORD_1 src1_sel:DWORD
	v_fma_f16 v1, v30, v24, v1
	v_fma_f16 v0, v30, v0, -v2
	v_pack_b32_f16 v0, v1, v0
	v_lshrrev_b32_e32 v1, 16, v26
	s_waitcnt vmcnt(8)
	v_mul_f16_sdwa v2, v31, v1 dst_sel:DWORD dst_unused:UNUSED_PAD src0_sel:WORD_1 src1_sel:DWORD
	v_mul_f16_sdwa v3, v31, v26 dst_sel:DWORD dst_unused:UNUSED_PAD src0_sel:WORD_1 src1_sel:DWORD
	v_fma_f16 v2, v31, v26, v2
	v_fma_f16 v1, v31, v1, -v3
	v_pack_b32_f16 v1, v2, v1
	v_add_u32_e32 v2, 0x200, v14
	ds_write2_b32 v2, v0, v1 offset0:114 offset1:136
	s_waitcnt vmcnt(7)
	v_lshrrev_b32_e32 v0, 16, v32
	s_waitcnt vmcnt(5)
	v_mul_f16_sdwa v1, v35, v0 dst_sel:DWORD dst_unused:UNUSED_PAD src0_sel:WORD_1 src1_sel:DWORD
	v_mul_f16_sdwa v2, v35, v32 dst_sel:DWORD dst_unused:UNUSED_PAD src0_sel:WORD_1 src1_sel:DWORD
	v_fma_f16 v1, v35, v32, v1
	v_fma_f16 v0, v35, v0, -v2
	v_pack_b32_f16 v0, v1, v0
	v_lshrrev_b32_e32 v1, 16, v34
	s_waitcnt vmcnt(4)
	v_mul_f16_sdwa v2, v4, v1 dst_sel:DWORD dst_unused:UNUSED_PAD src0_sel:WORD_1 src1_sel:DWORD
	v_mul_f16_sdwa v3, v4, v34 dst_sel:DWORD dst_unused:UNUSED_PAD src0_sel:WORD_1 src1_sel:DWORD
	v_fma_f16 v2, v4, v34, v2
	v_fma_f16 v1, v4, v1, -v3
	v_pack_b32_f16 v1, v2, v1
	v_add_u32_e32 v2, 0x400, v14
	ds_write2_b32 v2, v0, v1 offset0:30 offset1:52
	s_waitcnt vmcnt(3)
	v_lshrrev_b32_e32 v0, 16, v33
	s_waitcnt vmcnt(2)
	v_mul_f16_sdwa v1, v36, v0 dst_sel:DWORD dst_unused:UNUSED_PAD src0_sel:WORD_1 src1_sel:DWORD
	v_mul_f16_sdwa v3, v36, v33 dst_sel:DWORD dst_unused:UNUSED_PAD src0_sel:WORD_1 src1_sel:DWORD
	v_fma_f16 v1, v36, v33, v1
	v_fma_f16 v0, v36, v0, -v3
	v_pack_b32_f16 v0, v1, v0
	s_waitcnt vmcnt(1)
	v_lshrrev_b32_e32 v1, 16, v5
	s_waitcnt vmcnt(0)
	v_mul_f16_sdwa v3, v6, v1 dst_sel:DWORD dst_unused:UNUSED_PAD src0_sel:WORD_1 src1_sel:DWORD
	v_mul_f16_sdwa v4, v6, v5 dst_sel:DWORD dst_unused:UNUSED_PAD src0_sel:WORD_1 src1_sel:DWORD
	v_fma_f16 v3, v6, v5, v3
	v_fma_f16 v1, v6, v1, -v4
	v_pack_b32_f16 v1, v3, v1
	ds_write2_b32 v2, v0, v1 offset0:74 offset1:96
.LBB0_3:
	s_or_b64 exec, exec, s[14:15]
	v_mov_b32_e32 v0, 0
	s_waitcnt lgkmcnt(0)
	s_barrier
	s_waitcnt lgkmcnt(0)
                                        ; implicit-def: $vgpr24
                                        ; implicit-def: $vgpr3
                                        ; implicit-def: $vgpr7
                                        ; implicit-def: $vgpr5
                                        ; implicit-def: $vgpr16
                                        ; implicit-def: $vgpr18
                                        ; implicit-def: $vgpr20
                                        ; implicit-def: $vgpr13
                                        ; implicit-def: $vgpr54
	s_and_saveexec_b64 s[0:1], vcc
	s_cbranch_execz .LBB0_5
; %bb.4:
	v_lshl_add_u32 v9, v23, 2, v28
	v_add_u32_e32 v2, 0x400, v9
	ds_read2_b32 v[0:1], v9 offset1:22
	ds_read2_b32 v[12:13], v9 offset0:44 offset1:66
	ds_read2_b32 v[19:20], v9 offset0:88 offset1:110
	;; [unrolled: 1-line block ×7, first 2 shown]
	ds_read_b32 v24, v9 offset:1408
	s_waitcnt lgkmcnt(7)
	v_alignbit_b32 v54, v12, v12, 16
.LBB0_5:
	s_or_b64 exec, exec, s[0:1]
	s_waitcnt lgkmcnt(0)
	v_pk_add_f16 v26, v1, v24 neg_lo:[0,1] neg_hi:[0,1]
	s_mov_b32 s0, 0xbb29
	v_pk_add_f16 v25, v24, v1
	s_movk_i32 s2, 0x3722
	v_mul_f16_sdwa v40, v26, s0 dst_sel:DWORD dst_unused:UNUSED_PAD src0_sel:WORD_1 src1_sel:DWORD
	s_mov_b32 s1, 0xbbf7
	s_mov_b32 s14, 0xba62
	v_pk_add_f16 v30, v3, v54 op_sel:[1,0] op_sel_hi:[0,1]
	v_pk_add_f16 v37, v54, v3 op_sel:[1,0] op_sel_hi:[0,1] neg_lo:[0,1] neg_hi:[0,1]
	v_fma_f16 v9, v25, s2, v40
	s_movk_i32 s3, 0x2de8
	v_mul_f16_sdwa v43, v26, s1 dst_sel:DWORD dst_unused:UNUSED_PAD src0_sel:WORD_1 src1_sel:DWORD
	s_mov_b32 s11, 0xb8d2
	v_lshrrev_b32_e32 v63, 16, v30
	v_mul_f16_sdwa v44, v37, s14 dst_sel:DWORD dst_unused:UNUSED_PAD src0_sel:WORD_1 src1_sel:DWORD
	s_mov_b32 s16, 0xb1e1
	v_add_f16_e32 v9, v9, v0
	v_fma_f16 v10, v25, s3, v43
	v_fma_f16 v11, v63, s11, v44
	s_mov_b32 s15, 0xbbdd
	v_mul_f16_sdwa v47, v37, s16 dst_sel:DWORD dst_unused:UNUSED_PAD src0_sel:WORD_1 src1_sel:DWORD
	v_pk_add_f16 v39, v13, v2 neg_lo:[0,1] neg_hi:[0,1]
	s_movk_i32 s8, 0x31e1
	v_add_f16_e32 v10, v10, v0
	v_add_f16_e32 v9, v11, v9
	v_fma_f16 v11, v63, s15, v47
	s_movk_i32 s9, 0x3bb2
	v_pk_add_f16 v38, v2, v13
	v_mul_f16_sdwa v48, v39, s8 dst_sel:DWORD dst_unused:UNUSED_PAD src0_sel:WORD_1 src1_sel:DWORD
	s_mov_b32 s10, 0xb461
	v_add_f16_e32 v10, v11, v10
	v_fma_f16 v11, v38, s15, v48
	v_mul_f16_sdwa v51, v39, s9 dst_sel:DWORD dst_unused:UNUSED_PAD src0_sel:WORD_1 src1_sel:DWORD
	v_pk_add_f16 v42, v19, v7 neg_lo:[0,1] neg_hi:[0,1]
	v_add_f16_e32 v9, v11, v9
	v_fma_f16 v11, v38, s10, v51
	v_pk_add_f16 v41, v7, v19
	v_mul_f16_sdwa v52, v42, s9 dst_sel:DWORD dst_unused:UNUSED_PAD src0_sel:WORD_1 src1_sel:DWORD
	s_movk_i32 s19, 0x35c8
	v_add_f16_e32 v10, v11, v10
	v_fma_f16 v11, v41, s10, v52
	s_movk_i32 s17, 0x3b76
	v_mul_f16_sdwa v56, v42, s19 dst_sel:DWORD dst_unused:UNUSED_PAD src0_sel:WORD_1 src1_sel:DWORD
	s_movk_i32 s20, 0x3964
	v_pk_add_f16 v46, v20, v6 neg_lo:[0,1] neg_hi:[0,1]
	v_add_f16_e32 v9, v11, v9
	v_fma_f16 v11, v41, s17, v56
	s_movk_i32 s18, 0x39e9
	v_pk_add_f16 v45, v6, v20
	v_mul_f16_sdwa v57, v46, s20 dst_sel:DWORD dst_unused:UNUSED_PAD src0_sel:WORD_1 src1_sel:DWORD
	v_add_f16_e32 v10, v11, v10
	v_fma_f16 v11, v45, s18, v57
	v_mul_f16_sdwa v60, v46, s0 dst_sel:DWORD dst_unused:UNUSED_PAD src0_sel:WORD_1 src1_sel:DWORD
	s_mov_b32 s8, 0xb5c8
	v_pk_add_f16 v50, v17, v5 neg_lo:[0,1] neg_hi:[0,1]
	v_add_f16_e32 v9, v11, v9
	v_fma_f16 v11, v45, s2, v60
	v_pk_add_f16 v49, v5, v17
	v_mul_f16_sdwa v61, v50, s8 dst_sel:DWORD dst_unused:UNUSED_PAD src0_sel:WORD_1 src1_sel:DWORD
	s_mov_b32 s22, 0xb836
	v_add_f16_e32 v10, v11, v10
	v_fma_f16 v11, v49, s17, v61
	s_mov_b32 s21, 0xbacd
	v_mul_f16_sdwa v64, v50, s22 dst_sel:DWORD dst_unused:UNUSED_PAD src0_sel:WORD_1 src1_sel:DWORD
	v_pk_add_f16 v55, v18, v4 neg_lo:[0,1] neg_hi:[0,1]
	v_add_f16_e32 v9, v11, v9
	v_fma_f16 v11, v49, s21, v64
	v_pk_add_f16 v53, v4, v18
	v_mul_f16_sdwa v65, v55, s1 dst_sel:DWORD dst_unused:UNUSED_PAD src0_sel:WORD_1 src1_sel:DWORD
	s_movk_i32 s24, 0x3a62
	v_add_f16_e32 v10, v11, v10
	v_fma_f16 v11, v53, s3, v65
	v_mul_f16_sdwa v66, v55, s24 dst_sel:DWORD dst_unused:UNUSED_PAD src0_sel:WORD_1 src1_sel:DWORD
	v_pk_add_f16 v59, v15, v16 neg_lo:[0,1] neg_hi:[0,1]
	v_add_f16_e32 v9, v11, v9
	v_fma_f16 v11, v53, s11, v66
	v_pk_add_f16 v58, v16, v15
	v_mul_f16_sdwa v68, v59, s22 dst_sel:DWORD dst_unused:UNUSED_PAD src0_sel:WORD_1 src1_sel:DWORD
	v_add_f16_e32 v11, v11, v10
	v_fma_f16 v10, v58, s21, v68
	v_mul_f16_sdwa v69, v59, s20 dst_sel:DWORD dst_unused:UNUSED_PAD src0_sel:WORD_1 src1_sel:DWORD
	v_add_f16_e32 v10, v10, v9
	v_fma_f16 v9, v58, s18, v69
	;; [unrolled: 3-line block ×4, first 2 shown]
	v_mul_f16_sdwa v91, v26, s22 dst_sel:DWORD dst_unused:UNUSED_PAD src0_sel:WORD_1 src1_sel:DWORD
	s_movk_i32 s23, 0x3b29
	v_add_f16_e32 v11, v12, v11
	v_fma_f16 v12, v25, s21, v91
	v_mul_f16_sdwa v92, v37, s23 dst_sel:DWORD dst_unused:UNUSED_PAD src0_sel:WORD_1 src1_sel:DWORD
	v_add_f16_e32 v12, v12, v0
	v_fma_f16 v14, v63, s2, v92
	v_mul_f16_sdwa v81, v39, s8 dst_sel:DWORD dst_unused:UNUSED_PAD src0_sel:WORD_1 src1_sel:DWORD
	;; [unrolled: 3-line block ×5, first 2 shown]
	s_movk_i32 s24, 0x3bf7
	v_add_f16_e32 v11, v14, v11
	v_fma_f16 v14, v41, s11, v96
	v_mul_f16_sdwa v83, v46, s24 dst_sel:DWORD dst_unused:UNUSED_PAD src0_sel:WORD_1 src1_sel:DWORD
	v_add_f16_e32 v12, v14, v12
	v_fma_f16 v14, v45, s3, v83
	v_mul_f16_sdwa v98, v46, s8 dst_sel:DWORD dst_unused:UNUSED_PAD src0_sel:WORD_1 src1_sel:DWORD
	s_mov_b32 s9, 0xb964
	v_add_f16_e32 v11, v14, v11
	v_fma_f16 v14, v45, s17, v98
	v_mul_f16_sdwa v85, v50, s9 dst_sel:DWORD dst_unused:UNUSED_PAD src0_sel:WORD_1 src1_sel:DWORD
	v_add_f16_e32 v12, v14, v12
	v_fma_f16 v14, v49, s18, v85
	v_mul_f16_sdwa v100, v50, s16 dst_sel:DWORD dst_unused:UNUSED_PAD src0_sel:WORD_1 src1_sel:DWORD
	;; [unrolled: 3-line block ×4, first 2 shown]
	v_add_f16_e32 v11, v14, v11
	v_fma_f16 v14, v53, s18, v103
	s_mov_b32 s25, 0xbbb2
	v_mul_f16_sdwa v93, v59, s23 dst_sel:DWORD dst_unused:UNUSED_PAD src0_sel:WORD_1 src1_sel:DWORD
	v_add_f16_e32 v12, v14, v12
	v_fma_f16 v14, v58, s2, v93
	v_mul_f16_sdwa v107, v59, s25 dst_sel:DWORD dst_unused:UNUSED_PAD src0_sel:WORD_1 src1_sel:DWORD
	v_add_f16_e32 v22, v14, v11
	v_fma_f16 v11, v58, s10, v107
	;; [unrolled: 3-line block ×4, first 2 shown]
	v_lshrrev_b32_e32 v157, 16, v25
	v_mul_f16_e32 v72, 0xb964, v26
	v_add_f16_e32 v11, v12, v11
	v_fma_f16 v12, v157, s18, -v72
	v_mul_f16_e32 v73, 0xbbf7, v37
	v_add_f16_sdwa v12, v12, v0 dst_sel:DWORD dst_unused:UNUSED_PAD src0_sel:DWORD src1_sel:WORD_1
	v_fma_f16 v14, v30, s3, -v73
	v_mul_f16_e32 v76, 0xbb29, v26
	v_add_f16_e32 v12, v14, v12
	v_fma_f16 v14, v157, s2, -v76
	v_mul_f16_e32 v77, 0xba62, v37
	v_add_f16_sdwa v14, v14, v0 dst_sel:DWORD dst_unused:UNUSED_PAD src0_sel:DWORD src1_sel:WORD_1
	v_fma_f16 v31, v30, s11, -v77
	;; [unrolled: 6-line block ×3, first 2 shown]
	v_mul_f16_sdwa v99, v26, s25 dst_sel:DWORD dst_unused:UNUSED_PAD src0_sel:WORD_1 src1_sel:DWORD
	s_movk_i32 s9, 0x3836
	v_add_f16_e32 v31, v32, v31
	v_fma_f16 v32, v25, s10, v99
	v_mul_f16_sdwa v101, v37, s9 dst_sel:DWORD dst_unused:UNUSED_PAD src0_sel:WORD_1 src1_sel:DWORD
	v_add_f16_e32 v32, v32, v0
	v_fma_f16 v33, v63, s21, v101
	v_mul_f16_e32 v108, 0xbbb2, v26
	v_add_f16_e32 v32, v33, v32
	v_fma_f16 v33, v157, s10, -v108
	v_mul_f16_e32 v109, 0x3836, v37
	v_add_f16_sdwa v33, v33, v0 dst_sel:DWORD dst_unused:UNUSED_PAD src0_sel:DWORD src1_sel:WORD_1
	v_fma_f16 v34, v30, s21, -v109
	v_mul_f16_e32 v118, 0xba62, v26
	v_add_f16_e32 v33, v34, v33
	v_fma_f16 v34, v157, s11, -v118
	v_mul_f16_e32 v120, 0x3bb2, v37
	v_add_f16_sdwa v34, v34, v0 dst_sel:DWORD dst_unused:UNUSED_PAD src0_sel:DWORD src1_sel:WORD_1
	v_fma_f16 v35, v30, s10, -v120
	;; [unrolled: 6-line block ×3, first 2 shown]
	v_mul_f16_sdwa v74, v39, s0 dst_sel:DWORD dst_unused:UNUSED_PAD src0_sel:WORD_1 src1_sel:DWORD
	v_add_f16_e32 v35, v36, v35
	v_fma_f16 v36, v38, s2, v74
	v_lshrrev_b32_e32 v160, 16, v38
	v_mul_f16_e32 v80, 0xba62, v39
	v_add_f16_e32 v11, v36, v11
	v_fma_f16 v36, v160, s11, -v80
	v_mul_f16_e32 v90, 0x31e1, v39
	v_add_f16_e32 v12, v36, v12
	v_fma_f16 v36, v160, s15, -v90
	v_mul_f16_e32 v106, 0x3bb2, v39
	v_add_f16_e32 v14, v36, v14
	v_fma_f16 v36, v160, s10, -v106
	v_mul_f16_sdwa v111, v39, s20 dst_sel:DWORD dst_unused:UNUSED_PAD src0_sel:WORD_1 src1_sel:DWORD
	v_add_f16_e32 v31, v36, v31
	v_fma_f16 v36, v38, s18, v111
	v_mul_f16_e32 v116, 0x3964, v39
	v_add_f16_e32 v32, v36, v32
	v_fma_f16 v36, v160, s18, -v116
	v_mul_f16_e32 v133, 0xb5c8, v39
	v_add_f16_e32 v33, v36, v33
	v_fma_f16 v36, v160, s17, -v133
	v_mul_f16_e32 v151, 0xbbf7, v39
	v_add_f16_e32 v34, v36, v34
	v_fma_f16 v36, v160, s3, -v151
	v_mul_f16_sdwa v75, v42, s1 dst_sel:DWORD dst_unused:UNUSED_PAD src0_sel:WORD_1 src1_sel:DWORD
	v_add_f16_e32 v35, v36, v35
	v_fma_f16 v36, v41, s3, v75
	v_lshrrev_b32_e32 v163, 16, v41
	v_mul_f16_e32 v86, 0xb1e1, v42
	v_add_f16_e32 v11, v36, v11
	v_fma_f16 v36, v163, s15, -v86
	v_mul_f16_e32 v102, 0x3bb2, v42
	v_add_f16_e32 v12, v36, v12
	v_fma_f16 v36, v163, s10, -v102
	v_mul_f16_e32 v113, 0x35c8, v42
	v_add_f16_e32 v14, v36, v14
	v_fma_f16 v36, v163, s17, -v113
	v_mul_f16_sdwa v117, v42, s0 dst_sel:DWORD dst_unused:UNUSED_PAD src0_sel:WORD_1 src1_sel:DWORD
	v_add_f16_e32 v31, v36, v31
	v_fma_f16 v36, v41, s2, v117
	v_mul_f16_e32 v124, 0xbb29, v42
	v_add_f16_e32 v32, v36, v32
	v_fma_f16 v36, v163, s2, -v124
	v_mul_f16_e32 v140, 0xb836, v42
	v_add_f16_e32 v33, v36, v33
	v_fma_f16 v36, v163, s21, -v140
	v_mul_f16_e32 v155, 0x3a62, v42
	v_add_f16_e32 v34, v36, v34
	v_fma_f16 v36, v163, s11, -v155
	;; [unrolled: 25-line block ×4, first 2 shown]
	v_mul_f16_sdwa v104, v55, s22 dst_sel:DWORD dst_unused:UNUSED_PAD src0_sel:WORD_1 src1_sel:DWORD
	v_add_f16_e32 v35, v36, v35
	v_fma_f16 v36, v53, s21, v104
	v_lshrrev_b32_e32 v169, 16, v53
	v_mul_f16_e32 v112, 0x3b29, v55
	v_add_f16_e32 v11, v36, v11
	v_fma_f16 v36, v169, s2, -v112
	v_mul_f16_e32 v121, 0xbbf7, v55
	v_add_f16_e32 v36, v36, v12
	v_fma_f16 v12, v169, s3, -v121
	;; [unrolled: 3-line block ×3, first 2 shown]
	v_mul_f16_sdwa v150, v55, s8 dst_sel:DWORD dst_unused:UNUSED_PAD src0_sel:WORD_1 src1_sel:DWORD
	v_add_f16_e32 v31, v12, v31
	v_fma_f16 v12, v53, s17, v150
	v_mul_f16_e32 v154, 0xb5c8, v55
	v_add_f16_e32 v173, v12, v32
	v_fma_f16 v12, v169, s17, -v154
	v_lshrrev_b32_e32 v171, 16, v58
	v_mul_f16_e32 v153, 0xb836, v59
	v_add_f16_e32 v62, v12, v33
	v_mul_f16_e32 v161, 0xb1e1, v55
	v_fma_f16 v33, v171, s21, -v153
	v_mul_f16_e32 v158, 0x3964, v59
	v_fma_f16 v12, v169, s15, -v161
	v_mul_f16_e32 v166, 0x3964, v55
	v_add_f16_e32 v33, v33, v14
	v_fma_f16 v14, v171, s18, -v158
	v_mul_f16_e32 v164, 0xba62, v59
	v_add_f16_e32 v67, v12, v34
	v_fma_f16 v12, v169, s18, -v166
	v_add_f16_e32 v34, v14, v31
	v_fma_f16 v14, v171, s11, -v164
	v_mul_f16_e32 v170, 0x3b29, v59
	v_add_f16_e32 v141, v12, v35
	s_mov_b32 s0, 0x3b7639e9
	v_add_f16_e32 v35, v14, v62
	v_fma_f16 v14, v171, s2, -v170
	v_mul_f16_e32 v172, 0xbbb2, v59
	s_mov_b32 s1, 0xb964b5c8
	s_mov_b32 s8, 0xbbf7b964
	v_pk_mul_f16 v142, v25, s0
	v_add_f16_e32 v67, v14, v67
	v_fma_f16 v14, v171, s10, -v172
	s_mov_b32 s26, 0x2de839e9
	s_mov_b32 s9, 0x3722b8d2
	v_mul_f16_sdwa v114, v59, s16 dst_sel:DWORD dst_unused:UNUSED_PAD src0_sel:WORD_1 src1_sel:DWORD
	v_pk_mul_f16 v143, v37, s8
	v_add_f16_e32 v62, v14, v141
	v_pk_fma_f16 v141, v26, s1, v142 op_sel:[0,0,1] op_sel_hi:[1,1,0] neg_lo:[1,0,0] neg_hi:[1,0,0]
	s_mov_b32 s27, 0xba62bb29
	s_mov_b32 s28, 0x2de8bbdd
	v_fma_f16 v12, v58, s15, v114
	v_pk_fma_f16 v122, v26, s1, v142 op_sel:[0,0,1] op_sel_hi:[1,1,0]
	v_pk_mul_f16 v144, v38, s9
	v_pk_fma_f16 v142, v30, s26, v143 neg_lo:[0,0,1] neg_hi:[0,0,1]
	v_add_f16_sdwa v14, v141, v0 dst_sel:DWORD dst_unused:UNUSED_PAD src0_sel:DWORD src1_sel:WORD_1
	s_mov_b32 s29, 0xb1e1bbf7
	s_mov_b32 s30, 0xb461bacd
	v_add_f16_e32 v12, v12, v11
	v_pk_fma_f16 v123, v30, s26, v143
	v_add_f16_sdwa v11, v122, v0 dst_sel:DWORD dst_unused:UNUSED_PAD src0_sel:WORD_1 src1_sel:DWORD
	v_pk_mul_f16 v145, v41, s28
	v_pk_fma_f16 v143, v39, s27, v144 op_sel:[0,0,1] op_sel_hi:[1,1,0] neg_lo:[1,0,0] neg_hi:[1,0,0]
	v_add_f16_e32 v14, v142, v14
	s_mov_b32 s31, 0x3836bbb2
	s_mov_b32 s33, 0xb8d2b461
	v_add_f16_sdwa v11, v123, v11 dst_sel:DWORD dst_unused:UNUSED_PAD src0_sel:WORD_1 src1_sel:DWORD
	v_pk_fma_f16 v125, v39, s27, v144 op_sel:[0,0,1] op_sel_hi:[1,1,0]
	v_pk_mul_f16 v146, v45, s30
	v_pk_fma_f16 v144, v42, s29, v145 op_sel:[0,0,1] op_sel_hi:[1,1,0] neg_lo:[1,0,0] neg_hi:[1,0,0]
	v_add_f16_e32 v14, v143, v14
	s_mov_b32 s34, 0x3bb2ba62
	s_mov_b32 s35, 0xbacd3722
	v_add_f16_sdwa v11, v125, v11 dst_sel:DWORD dst_unused:UNUSED_PAD src0_sel:WORD_1 src1_sel:DWORD
	v_pk_fma_f16 v126, v42, s29, v145 op_sel:[0,0,1] op_sel_hi:[1,1,0]
	;; [unrolled: 7-line block ×3, first 2 shown]
	v_pk_mul_f16 v148, v53, s35
	s_load_dwordx2 s[8:9], s[4:5], 0x20
	s_nop 0
	s_load_dwordx2 s[4:5], s[4:5], 0x8
	v_pk_fma_f16 v146, v50, s34, v147 op_sel:[0,0,1] op_sel_hi:[1,1,0] neg_lo:[1,0,0] neg_hi:[1,0,0]
	v_add_f16_e32 v14, v145, v14
	s_mov_b32 s38, 0x35c8b1e1
	v_add_f16_sdwa v11, v128, v11 dst_sel:DWORD dst_unused:UNUSED_PAD src0_sel:WORD_1 src1_sel:DWORD
	v_pk_fma_f16 v129, v50, s34, v147 op_sel:[0,0,1] op_sel_hi:[1,1,0]
	v_pk_mul_f16 v167, v58, s37
	v_mul_f16_e32 v135, 0x35c8, v59
	v_pk_fma_f16 v147, v55, s36, v148 op_sel:[0,0,1] op_sel_hi:[1,1,0] neg_lo:[1,0,0] neg_hi:[1,0,0]
	v_add_f16_e32 v14, v146, v14
	v_add_f16_sdwa v11, v129, v11 dst_sel:DWORD dst_unused:UNUSED_PAD src0_sel:WORD_1 src1_sel:DWORD
	v_pk_fma_f16 v131, v55, s36, v148 op_sel:[0,0,1] op_sel_hi:[1,1,0]
	v_pk_fma_f16 v132, v59, s38, v167 op_sel:[0,0,1] op_sel_hi:[1,1,0]
	v_fma_f16 v32, v171, s17, -v135
	v_pk_fma_f16 v148, v59, s38, v167 op_sel:[0,0,1] op_sel_hi:[1,1,0] neg_lo:[1,0,0] neg_hi:[1,0,0]
	v_add_f16_e32 v14, v147, v14
	v_mul_f16_sdwa v167, v59, s14 dst_sel:DWORD dst_unused:UNUSED_PAD src0_sel:WORD_1 src1_sel:DWORD
	v_add_f16_sdwa v11, v131, v11 dst_sel:DWORD dst_unused:UNUSED_PAD src0_sel:WORD_1 src1_sel:DWORD
	v_add_f16_e32 v32, v32, v36
	v_add_f16_e32 v36, v148, v14
	v_fma_f16 v14, v58, s11, v167
	v_add_f16_sdwa v11, v132, v11 dst_sel:DWORD dst_unused:UNUSED_PAD src0_sel:WORD_1 src1_sel:DWORD
	v_add_f16_e32 v14, v14, v173
	v_mul_lo_u16_e32 v31, 17, v27
	s_waitcnt lgkmcnt(0)
	s_barrier
	s_and_saveexec_b64 s[0:1], vcc
	s_cbranch_execz .LBB0_7
; %bb.6:
	v_mul_f16_e32 v182, 0xb8d2, v25
	v_mul_f16_e32 v193, 0xb461, v63
	v_sub_f16_e32 v78, v182, v78
	v_mul_f16_e32 v204, 0x3b76, v38
	v_add_f16_e32 v78, v78, v0
	v_sub_f16_e32 v79, v193, v79
	v_mul_f16_e32 v215, 0xbacd, v41
	v_add_f16_e32 v78, v79, v78
	;; [unrolled: 3-line block ×4, first 2 shown]
	v_sub_f16_e32 v79, v226, v83
	v_mul_f16_e32 v208, 0xbbdd, v163
	v_mul_f16_e32 v210, 0xb461, v163
	;; [unrolled: 1-line block ×7, first 2 shown]
	v_add_f16_e32 v78, v79, v78
	v_sub_f16_e32 v79, v237, v85
	v_add_f16_e32 v155, v155, v163
	v_mul_f16_e32 v163, 0x3722, v58
	v_add_f16_e32 v78, v79, v78
	v_sub_f16_e32 v79, v248, v87
	v_mul_f16_e32 v176, 0x3722, v25
	v_mul_f16_e32 v181, 0xb461, v157
	v_add_f16_e32 v78, v79, v78
	v_sub_f16_e32 v79, v163, v93
	v_alignbit_b32 v173, v0, v0, 16
	v_mul_f16_e32 v178, 0x2de8, v25
	v_mul_f16_e32 v187, 0xb8d2, v63
	;; [unrolled: 1-line block ×3, first 2 shown]
	v_add_f16_e32 v78, v79, v78
	v_add_f16_e32 v79, v108, v181
	v_sub_f16_e32 v40, v176, v40
	v_alignbit_b32 v54, v54, v54, 16
	v_mul_f16_e32 v189, 0xbbdd, v63
	v_mul_f16_e32 v198, 0xbbdd, v38
	;; [unrolled: 1-line block ×3, first 2 shown]
	v_add_f16_sdwa v79, v79, v0 dst_sel:DWORD dst_unused:UNUSED_PAD src0_sel:DWORD src1_sel:WORD_1
	v_add_f16_e32 v81, v109, v192
	v_sub_f16_e32 v43, v178, v43
	v_add_f16_e32 v40, v40, v0
	v_sub_f16_e32 v44, v187, v44
	v_pk_add_f16 v1, v1, v173 op_sel:[0,1] op_sel_hi:[1,0]
	v_mul_f16_e32 v175, 0x39e9, v157
	v_mul_f16_e32 v177, 0x3722, v157
	;; [unrolled: 1-line block ×7, first 2 shown]
	v_add_f16_e32 v79, v81, v79
	v_add_f16_e32 v81, v116, v203
	;; [unrolled: 1-line block ×3, first 2 shown]
	v_sub_f16_e32 v47, v189, v47
	v_add_f16_e32 v40, v44, v40
	v_sub_f16_e32 v44, v198, v48
	v_pk_add_f16 v1, v54, v1
	v_mul_f16_e32 v195, 0x3722, v30
	v_mul_f16_e32 v211, 0x3b76, v41
	;; [unrolled: 1-line block ×4, first 2 shown]
	v_add_f16_e32 v138, v138, v157
	v_add_f16_e32 v79, v81, v79
	;; [unrolled: 1-line block ×4, first 2 shown]
	v_sub_f16_e32 v47, v200, v51
	v_add_f16_e32 v40, v44, v40
	v_sub_f16_e32 v44, v209, v52
	v_pk_add_f16 v1, v13, v1
	v_mul_f16_e32 v197, 0xb8d2, v160
	v_mul_f16_e32 v199, 0xbbdd, v160
	;; [unrolled: 1-line block ×8, first 2 shown]
	v_add_f16_e32 v139, v139, v195
	v_add_f16_sdwa v138, v138, v0 dst_sel:DWORD dst_unused:UNUSED_PAD src0_sel:DWORD src1_sel:WORD_1
	v_add_f16_e32 v79, v81, v79
	v_add_f16_e32 v81, v134, v225
	;; [unrolled: 1-line block ×3, first 2 shown]
	v_sub_f16_e32 v47, v211, v56
	v_add_f16_e32 v40, v44, v40
	v_sub_f16_e32 v44, v220, v57
	v_pk_add_f16 v1, v19, v1
	v_mul_f16_e32 v233, 0xbacd, v49
	v_mul_f16_e32 v242, 0x2de8, v53
	;; [unrolled: 1-line block ×3, first 2 shown]
	v_add_f16_e32 v138, v139, v138
	v_add_f16_e32 v151, v151, v160
	;; [unrolled: 1-line block ×5, first 2 shown]
	v_sub_f16_e32 v47, v222, v60
	v_add_f16_e32 v40, v44, v40
	v_sub_f16_e32 v44, v231, v61
	v_pk_add_f16 v1, v20, v1
	v_mul_f16_e32 v244, 0xb8d2, v53
	v_mul_f16_e32 v253, 0xbacd, v58
	v_add_f16_e32 v138, v151, v138
	v_mul_f16_e32 v151, 0xb8d2, v171
	v_add_f16_e32 v79, v81, v79
	v_add_f16_e32 v81, v154, v247
	;; [unrolled: 1-line block ×3, first 2 shown]
	v_sub_f16_e32 v47, v233, v64
	v_add_f16_e32 v40, v44, v40
	v_sub_f16_e32 v44, v242, v65
	v_pk_add_f16 v1, v17, v1
	v_mul_f16_e32 v180, 0xb461, v25
	v_mul_f16_e32 v184, 0xbacd, v25
	;; [unrolled: 1-line block ×3, first 2 shown]
	v_add_f16_e32 v79, v81, v79
	v_add_f16_e32 v81, v164, v151
	;; [unrolled: 1-line block ×3, first 2 shown]
	v_sub_f16_e32 v47, v244, v66
	v_add_f16_e32 v40, v44, v40
	v_sub_f16_e32 v44, v253, v68
	v_pk_add_f16 v1, v18, v1
	v_mul_f16_e32 v185, 0x39e9, v63
	v_mul_f16_e32 v186, 0x2de8, v30
	v_mul_f16_e32 v191, 0xbacd, v63
	v_mul_f16_e32 v63, 0x3722, v63
	v_sub_f16_e32 v91, v184, v91
	v_add_f16_e32 v79, v81, v79
	v_sub_f16_e32 v81, v180, v99
	v_add_f16_e32 v43, v47, v43
	;; [unrolled: 2-line block ×3, first 2 shown]
	v_add_f16_e32 v44, v72, v175
	v_pk_add_f16 v1, v15, v1
	v_mul_f16_e32 v188, 0xb8d2, v30
	v_mul_f16_e32 v202, 0x39e9, v38
	;; [unrolled: 1-line block ×3, first 2 shown]
	v_add_f16_e32 v91, v91, v0
	v_sub_f16_e32 v63, v63, v92
	v_add_f16_e32 v81, v81, v0
	v_sub_f16_e32 v82, v191, v101
	v_add_f16_e32 v43, v47, v43
	v_add_f16_e32 v47, v76, v177
	v_add_f16_sdwa v44, v44, v0 dst_sel:DWORD dst_unused:UNUSED_PAD src0_sel:DWORD src1_sel:WORD_1
	v_add_f16_e32 v48, v73, v186
	v_pk_add_f16 v1, v16, v1
	v_mul_f16_e32 v213, 0x3722, v41
	v_mul_f16_e32 v217, 0xb8d2, v41
	v_add_f16_e32 v63, v63, v91
	v_sub_f16_e32 v91, v206, v95
	v_add_f16_e32 v81, v82, v81
	v_sub_f16_e32 v82, v202, v111
	v_add_f16_sdwa v47, v47, v0 dst_sel:DWORD dst_unused:UNUSED_PAD src0_sel:DWORD src1_sel:WORD_1
	v_add_f16_e32 v51, v77, v188
	v_add_f16_e32 v44, v48, v44
	;; [unrolled: 1-line block ×3, first 2 shown]
	v_pk_add_f16 v1, v4, v1
	v_mul_f16_e32 v219, 0xbacd, v165
	v_mul_f16_e32 v224, 0xbbdd, v45
	v_mul_f16_e32 v228, 0x3b76, v45
	v_add_f16_e32 v63, v91, v63
	v_sub_f16_e32 v91, v217, v96
	v_add_f16_e32 v81, v82, v81
	v_sub_f16_e32 v82, v213, v117
	v_add_f16_e32 v47, v51, v47
	v_add_f16_e32 v51, v90, v199
	;; [unrolled: 1-line block ×4, first 2 shown]
	v_pk_add_f16 v1, v5, v1
	v_mul_f16_e32 v221, 0x39e9, v165
	v_mul_f16_e32 v230, 0xb461, v168
	;; [unrolled: 1-line block ×4, first 2 shown]
	v_add_f16_e32 v63, v91, v63
	v_sub_f16_e32 v91, v228, v98
	v_add_f16_e32 v81, v82, v81
	v_sub_f16_e32 v82, v224, v127
	v_add_f16_e32 v47, v51, v47
	v_add_f16_e32 v51, v102, v210
	;; [unrolled: 1-line block ×4, first 2 shown]
	v_pk_add_f16 v1, v6, v1
	v_mul_f16_e32 v223, 0x3722, v165
	v_mul_f16_e32 v227, 0x2de8, v165
	;; [unrolled: 1-line block ×7, first 2 shown]
	v_add_f16_e32 v63, v91, v63
	v_sub_f16_e32 v91, v239, v100
	v_add_f16_e32 v81, v82, v81
	v_sub_f16_e32 v82, v235, v136
	v_add_f16_e32 v47, v51, v47
	v_add_f16_e32 v51, v110, v221
	;; [unrolled: 1-line block ×4, first 2 shown]
	v_pk_add_f16 v1, v7, v1
	v_mul_f16_e32 v243, 0x2de8, v169
	v_mul_f16_e32 v252, 0x3b76, v171
	;; [unrolled: 1-line block ×3, first 2 shown]
	v_add_f16_e32 v159, v159, v165
	v_mul_f16_e32 v165, 0xb461, v58
	v_add_f16_e32 v63, v91, v63
	v_sub_f16_e32 v91, v250, v103
	v_add_f16_e32 v81, v82, v81
	v_sub_f16_e32 v82, v246, v150
	v_add_f16_e32 v47, v51, v47
	v_add_f16_e32 v51, v115, v232
	;; [unrolled: 1-line block ×4, first 2 shown]
	v_pk_add_f16 v1, v2, v1
	v_mul_f16_e32 v174, 0x3b76, v25
	v_mul_f16_e32 v157, 0xbacd, v171
	v_add_f16_e32 v63, v91, v63
	v_sub_f16_e32 v91, v165, v107
	v_add_f16_e32 v81, v82, v81
	v_sub_f16_e32 v82, v160, v167
	v_add_f16_e32 v47, v51, v47
	v_add_f16_e32 v51, v121, v243
	;; [unrolled: 1-line block ×4, first 2 shown]
	s_mov_b32 s26, 0xffff
	v_pk_add_f16 v1, v3, v1
	v_add_f16_e32 v63, v91, v63
	v_add_f16_e32 v91, v118, v183
	;; [unrolled: 1-line block ×7, first 2 shown]
	v_bfi_b32 v48, s26, v122, v141
	v_sub_f16_e32 v65, v174, v70
	v_add_lshl_u32 v13, v23, v31, 2
	v_pk_add_f16 v1, v24, v1
	v_mul_f16_e32 v190, 0xbbdd, v30
	v_mul_f16_e32 v196, 0x3722, v38
	v_add_f16_sdwa v91, v91, v0 dst_sel:DWORD dst_unused:UNUSED_PAD src0_sel:DWORD src1_sel:WORD_1
	v_add_f16_sdwa v82, v82, v0 dst_sel:DWORD dst_unused:UNUSED_PAD src0_sel:DWORD src1_sel:WORD_1
	v_add_f16_e32 v47, v51, v47
	v_bfi_b32 v51, s26, v123, v142
	v_add_f16_e32 v0, v65, v0
	v_sub_f16_e32 v65, v185, v71
	ds_write_b32 v13, v1
	v_pk_add_f16 v1, v48, v173
	v_mul_f16_e32 v194, 0xb461, v30
	v_mul_f16_e32 v207, 0x2de8, v41
	v_add_f16_e32 v83, v89, v190
	v_bfi_b32 v52, s26, v125, v143
	v_add_f16_e32 v0, v65, v0
	v_sub_f16_e32 v65, v196, v74
	v_pk_add_f16 v1, v51, v1
	v_mul_f16_e32 v218, 0xb461, v45
	v_add_f16_e32 v92, v120, v194
	v_add_f16_e32 v82, v83, v82
	;; [unrolled: 1-line block ×3, first 2 shown]
	v_bfi_b32 v56, s26, v126, v144
	v_add_f16_e32 v0, v65, v0
	v_sub_f16_e32 v65, v207, v75
	v_pk_add_f16 v1, v52, v1
	v_mul_f16_e32 v229, 0xb8d2, v49
	v_add_f16_e32 v91, v92, v91
	v_add_f16_e32 v92, v133, v205
	;; [unrolled: 1-line block ×4, first 2 shown]
	v_bfi_b32 v57, s26, v128, v145
	v_add_f16_e32 v0, v65, v0
	v_sub_f16_e32 v65, v218, v84
	v_pk_add_f16 v1, v56, v1
	v_mul_f16_e32 v234, 0xbacd, v168
	v_mul_f16_e32 v240, 0xbacd, v53
	v_add_f16_e32 v91, v92, v91
	v_add_f16_e32 v92, v140, v216
	;; [unrolled: 1-line block ×4, first 2 shown]
	v_bfi_b32 v60, s26, v129, v146
	v_add_f16_e32 v0, v65, v0
	v_sub_f16_e32 v65, v229, v94
	v_pk_add_f16 v1, v57, v1
	v_mul_f16_e32 v238, 0x39e9, v168
	v_mul_f16_e32 v245, 0xb8d2, v169
	;; [unrolled: 1-line block ×3, first 2 shown]
	v_add_f16_e32 v91, v92, v91
	v_add_f16_e32 v92, v152, v227
	;; [unrolled: 1-line block ×4, first 2 shown]
	v_bfi_b32 v61, s26, v131, v147
	v_add_f16_e32 v0, v65, v0
	v_sub_f16_e32 v65, v240, v104
	v_pk_add_f16 v1, v60, v1
	v_mul_f16_e32 v249, 0xbbdd, v169
	v_mul_f16_e32 v139, 0x39e9, v171
	v_add_f16_e32 v91, v92, v91
	v_add_f16_e32 v92, v156, v238
	v_add_f16_e32 v82, v83, v82
	v_add_f16_e32 v83, v137, v245
	v_bfi_b32 v64, s26, v132, v148
	v_add_f16_e32 v0, v65, v0
	v_sub_f16_e32 v65, v251, v114
	v_pk_add_f16 v1, v61, v1
	v_add_f16_e32 v138, v155, v138
	v_mul_f16_e32 v155, 0x3722, v171
	v_add_f16_e32 v91, v92, v91
	v_add_f16_e32 v92, v161, v249
	v_add_f16_e32 v82, v83, v82
	v_add_f16_e32 v83, v158, v139
	v_add_f16_e32 v0, v65, v0
	v_pk_add_f16 v1, v64, v1
	v_add_f16_e32 v91, v92, v91
	v_add_f16_e32 v92, v170, v155
	;; [unrolled: 1-line block ×3, first 2 shown]
	v_alignbit_b32 v2, v44, v1, 16
	v_pack_b32_f16 v0, v0, v1
	v_add_f16_e32 v91, v92, v91
	ds_write2_b32 v13, v0, v2 offset0:1 offset1:2
	v_pack_b32_f16 v0, v43, v82
	v_pack_b32_f16 v1, v40, v47
	ds_write2_b32 v13, v1, v0 offset0:3 offset1:4
	v_pack_b32_f16 v0, v78, v91
	v_pack_b32_f16 v1, v81, v79
	ds_write2_b32 v13, v1, v0 offset0:5 offset1:6
	v_pk_mul_f16 v0, v26, s16 op_sel_hi:[1,0]
	v_pk_mul_f16 v1, v37, s19 op_sel_hi:[1,0]
	v_pk_fma_f16 v15, v25, s15, v0 op_sel:[0,0,1] op_sel_hi:[1,0,0] neg_lo:[0,0,1] neg_hi:[0,0,1]
	v_pk_fma_f16 v0, v25, s15, v0 op_sel:[0,0,1] op_sel_hi:[1,0,0]
	v_bfi_b32 v16, s26, v15, v0
	v_pk_fma_f16 v17, v30, s17, v1 op_sel_hi:[1,0,1] neg_lo:[0,0,1] neg_hi:[0,0,1]
	v_pk_fma_f16 v1, v30, s17, v1 op_sel_hi:[1,0,1]
	v_pk_mul_f16 v2, v39, s22 op_sel_hi:[1,0]
	v_pk_add_f16 v16, v16, v173 op_sel:[0,1] op_sel_hi:[1,0]
	v_alignbit_b32 v18, v1, v17, 16
	v_pk_add_f16 v16, v18, v16
	v_pk_fma_f16 v18, v38, s21, v2 op_sel:[0,0,1] op_sel_hi:[1,0,0] neg_lo:[0,0,1] neg_hi:[0,0,1]
	v_pk_fma_f16 v2, v38, s21, v2 op_sel:[0,0,1] op_sel_hi:[1,0,0]
	v_pk_mul_f16 v3, v42, s20 op_sel_hi:[1,0]
	v_bfi_b32 v19, s26, v18, v2
	v_pk_add_f16 v16, v19, v16
	v_pk_fma_f16 v19, v41, s18, v3 op_sel:[0,0,1] op_sel_hi:[1,0,0] neg_lo:[0,0,1] neg_hi:[0,0,1]
	v_pk_fma_f16 v3, v41, s18, v3 op_sel:[0,0,1] op_sel_hi:[1,0,0]
	v_pk_mul_f16 v4, v46, s14 op_sel_hi:[1,0]
	v_bfi_b32 v20, s26, v19, v3
	v_pk_add_f16 v16, v20, v16
	v_pk_fma_f16 v20, v45, s11, v4 op_sel:[0,0,1] op_sel_hi:[1,0,0] neg_lo:[0,0,1] neg_hi:[0,0,1]
	v_pk_fma_f16 v4, v45, s11, v4 op_sel:[0,0,1] op_sel_hi:[1,0,0]
	v_bfi_b32 v0, s26, v0, v15
	v_pk_mul_f16 v5, v50, s23 op_sel_hi:[1,0]
	v_bfi_b32 v24, s26, v20, v4
	v_pk_add_f16 v0, v0, v173 op_sel:[0,1] op_sel_hi:[1,0]
	v_alignbit_b32 v1, v17, v1, 16
	v_pk_add_f16 v16, v24, v16
	v_pk_fma_f16 v24, v49, s2, v5 op_sel:[0,0,1] op_sel_hi:[1,0,0] neg_lo:[0,0,1] neg_hi:[0,0,1]
	v_pk_fma_f16 v5, v49, s2, v5 op_sel:[0,0,1] op_sel_hi:[1,0,0]
	v_pk_add_f16 v0, v1, v0
	v_bfi_b32 v1, s26, v2, v18
	v_pk_mul_f16 v6, v55, s25 op_sel_hi:[1,0]
	v_bfi_b32 v25, s26, v24, v5
	v_pk_add_f16 v0, v1, v0
	v_bfi_b32 v1, s26, v3, v19
	v_pk_add_f16 v16, v25, v16
	v_pk_fma_f16 v25, v53, s10, v6 op_sel:[0,0,1] op_sel_hi:[1,0,0] neg_lo:[0,0,1] neg_hi:[0,0,1]
	v_pk_fma_f16 v6, v53, s10, v6 op_sel:[0,0,1] op_sel_hi:[1,0,0]
	v_pk_add_f16 v0, v1, v0
	v_bfi_b32 v1, s26, v4, v20
	v_pk_mul_f16 v7, v59, s24 op_sel_hi:[1,0]
	v_bfi_b32 v26, s26, v25, v6
	v_pk_add_f16 v0, v1, v0
	v_bfi_b32 v1, s26, v5, v24
	v_mul_f16_e32 v168, 0xbbdd, v168
	v_pk_add_f16 v16, v26, v16
	v_pk_fma_f16 v26, v58, s3, v7 op_sel:[0,0,1] op_sel_hi:[1,0,0] neg_lo:[0,0,1] neg_hi:[0,0,1]
	v_pk_fma_f16 v7, v58, s3, v7 op_sel:[0,0,1] op_sel_hi:[1,0,0]
	v_pk_add_f16 v0, v1, v0
	v_bfi_b32 v1, s26, v6, v25
	v_mul_f16_e32 v169, 0x39e9, v169
	v_add_f16_e32 v138, v159, v138
	v_add_f16_e32 v159, v162, v168
	v_pk_add_f16 v0, v1, v0
	v_bfi_b32 v1, s26, v7, v26
	s_mov_b32 s2, 0x5040100
	v_mul_f16_e32 v171, 0xb461, v171
	v_add_f16_e32 v138, v159, v138
	v_add_f16_e32 v159, v166, v169
	v_pk_add_f16 v0, v1, v0
	v_perm_b32 v1, v62, v21, s2
	v_add_f16_e32 v138, v159, v138
	v_add_f16_e32 v159, v172, v171
	ds_write2_b32 v13, v0, v1 offset0:9 offset1:10
	v_perm_b32 v0, v35, v14, s2
	v_perm_b32 v1, v67, v22, s2
	v_add_f16_e32 v138, v159, v138
	v_bfi_b32 v30, s26, v26, v7
	ds_write2_b32 v13, v1, v0 offset0:11 offset1:12
	v_perm_b32 v0, v33, v10, s2
	v_perm_b32 v1, v34, v9, s2
	v_pk_add_f16 v16, v30, v16
	v_pack_b32_f16 v30, v63, v138
	ds_write2_b32 v13, v1, v0 offset0:13 offset1:14
	v_perm_b32 v0, v36, v12, s2
	v_perm_b32 v1, v32, v11, s2
	ds_write2_b32 v13, v30, v16 offset0:7 offset1:8
	ds_write2_b32 v13, v1, v0 offset0:15 offset1:16
.LBB0_7:
	s_or_b64 exec, exec, s[0:1]
	v_add_lshl_u32 v37, v23, v27, 2
	s_waitcnt lgkmcnt(0)
	s_barrier
	ds_read2_b32 v[4:5], v37 offset1:34
	ds_read2_b32 v[0:1], v37 offset0:136 offset1:187
	ds_read2_b32 v[6:7], v37 offset0:221 offset1:255
	ds_read2_b32 v[2:3], v37 offset0:68 offset1:102
	v_add_u32_e32 v13, 0x400, v37
	ds_read2_b32 v[15:16], v13 offset0:33 offset1:67
	v_cmp_gt_u16_e64 s[0:1], 17, v27
	s_and_saveexec_b64 s[2:3], s[0:1]
	s_cbranch_execz .LBB0_9
; %bb.8:
	v_add_u32_e32 v13, 0x200, v37
	ds_read2_b32 v[21:22], v13 offset0:42 offset1:229
	s_waitcnt lgkmcnt(0)
	v_lshrrev_b32_e32 v62, 16, v21
	v_lshrrev_b32_e32 v67, 16, v22
.LBB0_9:
	s_or_b64 exec, exec, s[2:3]
	s_movk_i32 s2, 0xffef
	v_add_co_u32_e64 v13, s[2:3], s2, v27
	v_addc_co_u32_e64 v17, s[2:3], 0, -1, s[2:3]
	v_cndmask_b32_e64 v19, v17, 0, s[0:1]
	v_cndmask_b32_e64 v18, v13, v27, s[0:1]
	v_lshlrev_b64 v[19:20], 2, v[18:19]
	v_mov_b32_e32 v13, s5
	v_add_co_u32_e64 v19, s[2:3], s4, v19
	v_addc_co_u32_e64 v20, s[2:3], v13, v20, s[2:3]
	s_movk_i32 s2, 0xf1
	v_add_u16_e32 v39, 0x66, v27
	v_add_u16_e32 v13, 34, v27
	v_mul_lo_u16_sdwa v40, v39, s2 dst_sel:DWORD dst_unused:UNUSED_PAD src0_sel:BYTE_0 src1_sel:DWORD
	v_mul_lo_u16_sdwa v17, v13, s2 dst_sel:DWORD dst_unused:UNUSED_PAD src0_sel:BYTE_0 src1_sel:DWORD
	v_lshrrev_b16_e32 v48, 12, v40
	v_lshrrev_b16_e32 v24, 12, v17
	v_mul_lo_u16_e32 v40, 17, v48
	v_mul_lo_u16_e32 v17, 17, v24
	v_add_u16_e32 v26, 0x44, v27
	v_sub_u16_e32 v49, v39, v40
	v_add_u16_e32 v40, 0x88, v27
	v_sub_u16_e32 v25, v13, v17
	v_mov_b32_e32 v13, 2
	v_mul_lo_u16_sdwa v30, v26, s2 dst_sel:DWORD dst_unused:UNUSED_PAD src0_sel:BYTE_0 src1_sel:DWORD
	v_mul_lo_u16_sdwa v41, v40, s2 dst_sel:DWORD dst_unused:UNUSED_PAD src0_sel:BYTE_0 src1_sel:DWORD
	v_lshlrev_b32_sdwa v17, v13, v25 dst_sel:DWORD dst_unused:UNUSED_PAD src0_sel:DWORD src1_sel:BYTE_0
	v_lshrrev_b16_e32 v30, 12, v30
	v_lshlrev_b32_sdwa v39, v13, v49 dst_sel:DWORD dst_unused:UNUSED_PAD src0_sel:DWORD src1_sel:BYTE_0
	global_load_dword v44, v[19:20], off
	v_lshrrev_b16_e32 v19, 12, v41
	v_mul_lo_u16_e32 v38, 17, v30
	global_load_dword v43, v17, s[4:5]
	global_load_dword v41, v39, s[4:5]
	v_mul_lo_u16_e32 v17, 17, v19
	v_sub_u16_e32 v26, v26, v38
	v_sub_u16_e32 v20, v40, v17
	v_lshlrev_b32_sdwa v38, v13, v26 dst_sel:DWORD dst_unused:UNUSED_PAD src0_sel:DWORD src1_sel:BYTE_0
	v_lshlrev_b32_sdwa v13, v13, v20 dst_sel:DWORD dst_unused:UNUSED_PAD src0_sel:DWORD src1_sel:BYTE_0
	global_load_dword v42, v38, s[4:5]
	global_load_dword v40, v13, s[4:5]
	v_add_u16_e32 v13, 0xaa, v27
	v_mul_lo_u16_sdwa v17, v13, s2 dst_sel:DWORD dst_unused:UNUSED_PAD src0_sel:BYTE_0 src1_sel:DWORD
	v_lshrrev_b16_e32 v17, 12, v17
	v_mul_lo_u16_e32 v17, 17, v17
	v_sub_u16_e32 v38, v13, v17
	v_and_b32_e32 v17, 0xff, v38
	v_lshlrev_b32_e32 v13, 2, v17
	global_load_dword v39, v13, s[4:5]
	s_waitcnt lgkmcnt(3)
	v_lshrrev_b32_e32 v45, 16, v1
	v_lshrrev_b32_e32 v13, 16, v4
	s_waitcnt lgkmcnt(2)
	v_lshrrev_b32_e32 v47, 16, v6
	v_cmp_lt_u16_e64 s[2:3], 16, v27
	v_lshrrev_b32_e32 v46, 16, v5
	s_load_dwordx4 s[8:11], s[8:9], 0x0
	v_lshrrev_b32_e32 v51, 16, v7
	s_waitcnt vmcnt(0) lgkmcnt(0)
	s_barrier
	v_lshrrev_b32_e32 v50, 16, v2
	v_lshrrev_b32_e32 v53, 16, v15
	;; [unrolled: 1-line block ×5, first 2 shown]
	v_mul_f16_sdwa v56, v45, v44 dst_sel:DWORD dst_unused:UNUSED_PAD src0_sel:DWORD src1_sel:WORD_1
	v_mul_f16_sdwa v57, v1, v44 dst_sel:DWORD dst_unused:UNUSED_PAD src0_sel:DWORD src1_sel:WORD_1
	v_fma_f16 v1, v1, v44, -v56
	v_fma_f16 v45, v45, v44, v57
	v_mul_f16_sdwa v58, v47, v43 dst_sel:DWORD dst_unused:UNUSED_PAD src0_sel:DWORD src1_sel:WORD_1
	v_mul_f16_sdwa v59, v6, v43 dst_sel:DWORD dst_unused:UNUSED_PAD src0_sel:DWORD src1_sel:WORD_1
	v_fma_f16 v6, v6, v43, -v58
	v_sub_f16_e32 v1, v4, v1
	v_fma_f16 v4, v4, 2.0, -v1
	v_fma_f16 v47, v47, v43, v59
	v_sub_f16_e32 v6, v5, v6
	v_sub_f16_e32 v47, v46, v47
	v_mul_f16_sdwa v60, v51, v42 dst_sel:DWORD dst_unused:UNUSED_PAD src0_sel:DWORD src1_sel:WORD_1
	v_mul_f16_sdwa v61, v7, v42 dst_sel:DWORD dst_unused:UNUSED_PAD src0_sel:DWORD src1_sel:WORD_1
	v_fma_f16 v5, v5, 2.0, -v6
	v_fma_f16 v59, v46, 2.0, -v47
	v_fma_f16 v7, v7, v42, -v60
	v_fma_f16 v51, v51, v42, v61
	v_sub_f16_e32 v7, v2, v7
	v_mul_f16_sdwa v56, v67, v39 dst_sel:DWORD dst_unused:UNUSED_PAD src0_sel:DWORD src1_sel:WORD_1
	v_mul_f16_sdwa v57, v22, v39 dst_sel:DWORD dst_unused:UNUSED_PAD src0_sel:DWORD src1_sel:WORD_1
	v_fma_f16 v22, v22, v39, -v56
	v_fma_f16 v56, v67, v39, v57
	v_sub_f16_e32 v57, v13, v45
	v_fma_f16 v58, v13, 2.0, -v57
	v_sub_f16_e32 v13, v21, v22
	v_cndmask_b32_e64 v22, 0, 34, s[2:3]
	v_add_u32_e32 v18, v18, v22
	v_add_lshl_u32 v45, v23, v18, 2
	v_pack_b32_f16 v4, v4, v58
	v_pack_b32_f16 v1, v1, v57
	ds_write2_b32 v45, v4, v1 offset1:17
	v_mad_legacy_u16 v1, v24, 34, v25
	v_and_b32_e32 v1, 0xff, v1
	v_add_lshl_u32 v46, v23, v1, 2
	v_pack_b32_f16 v1, v5, v59
	v_pack_b32_f16 v4, v6, v47
	v_sub_f16_e32 v51, v50, v51
	ds_write2_b32 v46, v1, v4 offset1:17
	v_mul_u32_u24_e32 v1, 34, v30
	v_mul_f16_sdwa v63, v53, v41 dst_sel:DWORD dst_unused:UNUSED_PAD src0_sel:DWORD src1_sel:WORD_1
	v_mul_f16_sdwa v64, v15, v41 dst_sel:DWORD dst_unused:UNUSED_PAD src0_sel:DWORD src1_sel:WORD_1
	v_fma_f16 v2, v2, 2.0, -v7
	v_fma_f16 v60, v50, 2.0, -v51
	v_add_u32_sdwa v1, v1, v26 dst_sel:DWORD dst_unused:UNUSED_PAD src0_sel:DWORD src1_sel:BYTE_0
	v_fma_f16 v15, v15, v41, -v63
	v_fma_f16 v53, v53, v41, v64
	v_add_lshl_u32 v47, v23, v1, 2
	v_pack_b32_f16 v1, v2, v60
	v_pack_b32_f16 v2, v7, v51
	v_sub_f16_e32 v15, v3, v15
	v_sub_f16_e32 v53, v52, v53
	ds_write2_b32 v47, v1, v2 offset1:17
	v_mul_u32_u24_e32 v1, 34, v48
	v_mul_f16_sdwa v65, v55, v40 dst_sel:DWORD dst_unused:UNUSED_PAD src0_sel:DWORD src1_sel:WORD_1
	v_mul_f16_sdwa v66, v16, v40 dst_sel:DWORD dst_unused:UNUSED_PAD src0_sel:DWORD src1_sel:WORD_1
	v_fma_f16 v3, v3, 2.0, -v15
	v_fma_f16 v52, v52, 2.0, -v53
	v_add_u32_sdwa v1, v1, v49 dst_sel:DWORD dst_unused:UNUSED_PAD src0_sel:DWORD src1_sel:BYTE_0
	v_fma_f16 v16, v16, v40, -v65
	v_fma_f16 v55, v55, v40, v66
	v_add_lshl_u32 v48, v23, v1, 2
	v_pack_b32_f16 v1, v3, v52
	v_pack_b32_f16 v2, v15, v53
	v_sub_f16_e32 v16, v0, v16
	v_sub_f16_e32 v55, v54, v55
	ds_write2_b32 v48, v1, v2 offset1:17
	v_mul_u32_u24_e32 v1, 34, v19
	v_fma_f16 v0, v0, 2.0, -v16
	v_fma_f16 v54, v54, 2.0, -v55
	v_add_u32_sdwa v1, v1, v20 dst_sel:DWORD dst_unused:UNUSED_PAD src0_sel:DWORD src1_sel:BYTE_0
	v_sub_f16_e32 v50, v62, v56
	v_add_lshl_u32 v49, v23, v1, 2
	v_pack_b32_f16 v0, v0, v54
	v_pack_b32_f16 v1, v16, v55
	ds_write2_b32 v49, v0, v1 offset1:17
	s_and_saveexec_b64 s[2:3], s[0:1]
	s_cbranch_execz .LBB0_11
; %bb.10:
	v_fma_f16 v0, v21, 2.0, -v13
	v_fma_f16 v1, v62, 2.0, -v50
	v_add_lshl_u32 v2, v23, v17, 2
	s_mov_b32 s14, 0x5040100
	v_pack_b32_f16 v0, v0, v1
	v_perm_b32 v1, v50, v13, s14
	v_add_u32_e32 v2, 0x400, v2
	ds_write2_b32 v2, v0, v1 offset0:84 offset1:101
.LBB0_11:
	s_or_b64 exec, exec, s[2:3]
	v_mad_u64_u32 v[17:18], s[2:3], v27, 40, s[4:5]
	s_waitcnt lgkmcnt(0)
	s_barrier
	global_load_dwordx4 v[0:3], v[17:18], off offset:68
	global_load_dwordx4 v[4:7], v[17:18], off offset:84
	global_load_dwordx2 v[15:16], v[17:18], off offset:100
	v_add_u32_e32 v23, 0x200, v37
	v_add_u32_e32 v25, 0x400, v37
	ds_read2_b32 v[17:18], v37 offset1:34
	ds_read2_b32 v[19:20], v37 offset0:68 offset1:102
	ds_read_b32 v30, v37 offset:544
	ds_read2_b32 v[21:22], v37 offset0:170 offset1:204
	ds_read2_b32 v[23:24], v23 offset0:110 offset1:144
	;; [unrolled: 1-line block ×3, first 2 shown]
	s_waitcnt lgkmcnt(5)
	v_lshrrev_b32_e32 v51, 16, v18
	s_waitcnt lgkmcnt(4)
	v_lshrrev_b32_e32 v52, 16, v19
	v_lshrrev_b32_e32 v53, 16, v20
	s_waitcnt lgkmcnt(3)
	v_lshrrev_b32_e32 v54, 16, v30
	s_waitcnt lgkmcnt(0)
	v_lshrrev_b32_e32 v60, 16, v26
	v_lshrrev_b32_e32 v55, 16, v21
	;; [unrolled: 1-line block ×6, first 2 shown]
	s_movk_i32 s2, 0x3abb
	s_movk_i32 s3, 0x36a6
	s_mov_b32 s4, 0xb08e
	s_mov_b32 s5, 0xb93d
	;; [unrolled: 1-line block ×3, first 2 shown]
	s_waitcnt vmcnt(2)
	v_mul_f16_sdwa v61, v51, v0 dst_sel:DWORD dst_unused:UNUSED_PAD src0_sel:DWORD src1_sel:WORD_1
	v_mul_f16_sdwa v62, v18, v0 dst_sel:DWORD dst_unused:UNUSED_PAD src0_sel:DWORD src1_sel:WORD_1
	;; [unrolled: 1-line block ×4, first 2 shown]
	s_waitcnt vmcnt(0)
	v_mul_f16_sdwa v80, v26, v16 dst_sel:DWORD dst_unused:UNUSED_PAD src0_sel:DWORD src1_sel:WORD_1
	v_fma_f16 v18, v18, v0, -v61
	v_fma_f16 v51, v51, v0, v62
	v_mul_f16_sdwa v65, v53, v2 dst_sel:DWORD dst_unused:UNUSED_PAD src0_sel:DWORD src1_sel:WORD_1
	v_mul_f16_sdwa v66, v20, v2 dst_sel:DWORD dst_unused:UNUSED_PAD src0_sel:DWORD src1_sel:WORD_1
	;; [unrolled: 1-line block ×3, first 2 shown]
	v_fma_f16 v19, v19, v1, -v63
	v_fma_f16 v61, v52, v1, v64
	v_fma_f16 v52, v60, v16, v80
	v_add_f16_e32 v60, v17, v18
	v_add_f16_sdwa v62, v17, v51 dst_sel:DWORD dst_unused:UNUSED_PAD src0_sel:WORD_1 src1_sel:DWORD
	v_mul_f16_sdwa v68, v30, v3 dst_sel:DWORD dst_unused:UNUSED_PAD src0_sel:DWORD src1_sel:WORD_1
	v_fma_f16 v20, v20, v2, -v65
	v_fma_f16 v53, v53, v2, v66
	v_add_f16_e32 v64, v51, v52
	v_sub_f16_e32 v65, v51, v52
	v_add_f16_e32 v51, v60, v19
	v_add_f16_e32 v60, v62, v61
	v_mul_f16_sdwa v67, v54, v3 dst_sel:DWORD dst_unused:UNUSED_PAD src0_sel:DWORD src1_sel:WORD_1
	v_mul_f16_sdwa v70, v21, v4 dst_sel:DWORD dst_unused:UNUSED_PAD src0_sel:DWORD src1_sel:WORD_1
	v_fma_f16 v54, v54, v3, v68
	v_add_f16_e32 v60, v60, v53
	v_mul_f16_sdwa v69, v55, v4 dst_sel:DWORD dst_unused:UNUSED_PAD src0_sel:DWORD src1_sel:WORD_1
	v_mul_f16_sdwa v72, v22, v5 dst_sel:DWORD dst_unused:UNUSED_PAD src0_sel:DWORD src1_sel:WORD_1
	v_fma_f16 v30, v30, v3, -v67
	v_fma_f16 v55, v55, v4, v70
	v_add_f16_e32 v51, v51, v20
	v_add_f16_e32 v60, v60, v54
	v_mul_f16_sdwa v71, v56, v5 dst_sel:DWORD dst_unused:UNUSED_PAD src0_sel:DWORD src1_sel:WORD_1
	v_mul_f16_sdwa v74, v23, v6 dst_sel:DWORD dst_unused:UNUSED_PAD src0_sel:DWORD src1_sel:WORD_1
	v_fma_f16 v21, v21, v4, -v69
	v_fma_f16 v56, v56, v5, v72
	v_add_f16_e32 v51, v51, v30
	;; [unrolled: 6-line block ×3, first 2 shown]
	v_add_f16_e32 v60, v60, v56
	v_mul_f16_sdwa v75, v58, v7 dst_sel:DWORD dst_unused:UNUSED_PAD src0_sel:DWORD src1_sel:WORD_1
	v_mul_f16_sdwa v78, v25, v15 dst_sel:DWORD dst_unused:UNUSED_PAD src0_sel:DWORD src1_sel:WORD_1
	v_fma_f16 v23, v23, v6, -v73
	v_fma_f16 v58, v58, v7, v76
	v_fma_f16 v26, v26, v16, -v79
	v_add_f16_e32 v51, v51, v22
	v_add_f16_e32 v60, v60, v57
	v_mul_f16_sdwa v77, v59, v15 dst_sel:DWORD dst_unused:UNUSED_PAD src0_sel:DWORD src1_sel:WORD_1
	v_fma_f16 v24, v24, v7, -v75
	v_fma_f16 v59, v59, v15, v78
	v_add_f16_e32 v63, v18, v26
	v_sub_f16_e32 v18, v18, v26
	v_add_f16_e32 v51, v51, v23
	v_add_f16_e32 v60, v60, v58
	v_fma_f16 v25, v25, v15, -v77
	v_mul_f16_e32 v62, 0xb853, v65
	v_mul_f16_e32 v66, 0xb853, v18
	v_add_f16_e32 v51, v51, v24
	v_add_f16_e32 v60, v60, v59
	v_fma_f16 v67, v63, s2, -v62
	v_fma_f16 v68, v64, s2, v66
	v_add_f16_e32 v51, v51, v25
	v_add_f16_e32 v52, v60, v52
	v_fma_f16 v60, v63, s2, v62
	v_fma_f16 v62, v64, s2, -v66
	v_mul_f16_e32 v66, 0xbb47, v65
	v_mul_f16_e32 v69, 0xbb47, v18
	;; [unrolled: 1-line block ×8, first 2 shown]
	v_add_f16_e32 v51, v51, v26
	v_add_f16_sdwa v26, v17, v68 dst_sel:DWORD dst_unused:UNUSED_PAD src0_sel:WORD_1 src1_sel:DWORD
	v_fma_f16 v68, v63, s3, -v66
	v_fma_f16 v70, v64, s3, v69
	v_fma_f16 v66, v63, s3, v66
	v_fma_f16 v69, v64, s3, -v69
	v_fma_f16 v72, v63, s4, -v71
	v_fma_f16 v74, v64, s4, v73
	v_fma_f16 v71, v63, s4, v71
	v_fma_f16 v73, v64, s4, -v73
	;; [unrolled: 4-line block ×4, first 2 shown]
	v_add_f16_e32 v67, v17, v67
	v_add_f16_e32 v60, v17, v60
	v_add_f16_sdwa v62, v17, v62 dst_sel:DWORD dst_unused:UNUSED_PAD src0_sel:WORD_1 src1_sel:DWORD
	v_add_f16_e32 v68, v17, v68
	v_add_f16_sdwa v70, v17, v70 dst_sel:DWORD dst_unused:UNUSED_PAD src0_sel:WORD_1 src1_sel:DWORD
	;; [unrolled: 2-line block ×9, first 2 shown]
	v_add_f16_e32 v18, v19, v25
	v_sub_f16_e32 v19, v19, v25
	v_sub_f16_e32 v25, v61, v59
	v_add_f16_e32 v64, v61, v59
	v_mul_f16_e32 v59, 0xbb47, v25
	v_fma_f16 v61, v18, s3, -v59
	v_mul_f16_e32 v65, 0xbb47, v19
	v_fma_f16 v59, v18, s3, v59
	v_add_f16_e32 v59, v59, v60
	v_fma_f16 v60, v64, s3, -v65
	v_add_f16_e32 v61, v61, v67
	v_fma_f16 v67, v64, s3, v65
	v_add_f16_e32 v60, v60, v62
	v_mul_f16_e32 v62, 0xba0c, v25
	v_add_f16_e32 v26, v67, v26
	v_fma_f16 v65, v18, s5, -v62
	v_mul_f16_e32 v67, 0xba0c, v19
	v_fma_f16 v62, v18, s5, v62
	v_add_f16_e32 v65, v65, v68
	v_fma_f16 v68, v64, s5, v67
	v_add_f16_e32 v62, v62, v66
	v_fma_f16 v66, v64, s5, -v67
	v_mul_f16_e32 v67, 0x3482, v25
	v_add_f16_e32 v68, v68, v70
	v_add_f16_e32 v66, v66, v69
	v_fma_f16 v69, v18, s14, -v67
	v_mul_f16_e32 v70, 0x3482, v19
	v_fma_f16 v67, v18, s14, v67
	v_add_f16_e32 v69, v69, v72
	v_fma_f16 v72, v64, s14, v70
	v_add_f16_e32 v67, v67, v71
	v_fma_f16 v70, v64, s14, -v70
	v_mul_f16_e32 v71, 0x3beb, v25
	v_add_f16_e32 v72, v72, v74
	v_add_f16_e32 v70, v70, v73
	v_fma_f16 v73, v18, s4, -v71
	v_mul_f16_e32 v74, 0x3beb, v19
	v_add_f16_e32 v73, v73, v76
	v_fma_f16 v76, v64, s4, v74
	v_fma_f16 v74, v64, s4, -v74
	v_mul_f16_e32 v19, 0x3853, v19
	v_add_f16_e32 v74, v74, v77
	v_fma_f16 v77, v64, s2, v19
	v_fma_f16 v19, v64, s2, -v19
	v_fma_f16 v71, v18, s4, v71
	v_mul_f16_e32 v25, 0x3853, v25
	v_add_f16_e32 v17, v19, v17
	v_add_f16_e32 v19, v20, v24
	v_sub_f16_e32 v20, v20, v24
	v_sub_f16_e32 v24, v53, v58
	v_add_f16_e32 v71, v71, v75
	v_fma_f16 v75, v18, s2, -v25
	v_fma_f16 v18, v18, s2, v25
	v_add_f16_e32 v25, v53, v58
	v_mul_f16_e32 v53, 0xbbeb, v24
	v_fma_f16 v58, v19, s4, -v53
	v_add_f16_e32 v58, v58, v61
	v_mul_f16_e32 v61, 0xbbeb, v20
	v_fma_f16 v53, v19, s4, v53
	v_add_f16_e32 v53, v53, v59
	v_fma_f16 v59, v25, s4, -v61
	v_add_f16_e32 v18, v18, v63
	v_fma_f16 v63, v25, s4, v61
	v_add_f16_e32 v59, v59, v60
	v_mul_f16_e32 v60, 0x3482, v24
	v_add_f16_e32 v26, v63, v26
	v_fma_f16 v61, v19, s14, -v60
	v_mul_f16_e32 v63, 0x3482, v20
	v_fma_f16 v60, v19, s14, v60
	v_fma_f16 v64, v25, s14, v63
	v_add_f16_e32 v60, v60, v62
	v_fma_f16 v62, v25, s14, -v63
	v_mul_f16_e32 v63, 0x3b47, v24
	v_add_f16_e32 v61, v61, v65
	v_fma_f16 v65, v19, s3, -v63
	v_fma_f16 v63, v19, s3, v63
	v_add_f16_e32 v62, v62, v66
	v_mul_f16_e32 v66, 0x3b47, v20
	v_add_f16_e32 v63, v63, v67
	v_mul_f16_e32 v67, 0xb853, v24
	v_add_f16_e32 v64, v64, v68
	v_add_f16_e32 v65, v65, v69
	v_fma_f16 v68, v25, s3, v66
	v_fma_f16 v66, v25, s3, -v66
	v_fma_f16 v69, v19, s2, -v67
	v_fma_f16 v67, v19, s2, v67
	v_mul_f16_e32 v24, 0xba0c, v24
	v_add_f16_e32 v66, v66, v70
	v_mul_f16_e32 v70, 0xb853, v20
	v_add_f16_e32 v67, v67, v71
	v_fma_f16 v71, v19, s5, -v24
	v_mul_f16_e32 v20, 0xba0c, v20
	v_fma_f16 v19, v19, s5, v24
	v_add_f16_e32 v18, v19, v18
	v_fma_f16 v19, v25, s5, -v20
	v_sub_f16_e32 v24, v54, v57
	v_add_f16_e32 v68, v68, v72
	v_add_f16_e32 v69, v69, v73
	v_fma_f16 v72, v25, s2, v70
	v_fma_f16 v70, v25, s2, -v70
	v_fma_f16 v73, v25, s5, v20
	v_add_f16_e32 v17, v19, v17
	v_add_f16_e32 v19, v30, v23
	v_sub_f16_e32 v23, v30, v23
	v_mul_f16_e32 v25, 0xba0c, v24
	v_add_f16_e32 v20, v54, v57
	v_fma_f16 v30, v19, s5, -v25
	v_mul_f16_e32 v54, 0xba0c, v23
	v_fma_f16 v25, v19, s5, v25
	v_add_f16_e32 v25, v25, v53
	v_fma_f16 v53, v20, s5, -v54
	v_fma_f16 v57, v20, s5, v54
	v_add_f16_e32 v54, v53, v59
	v_mul_f16_e32 v53, 0x3beb, v24
	v_add_f16_e32 v26, v57, v26
	v_fma_f16 v57, v19, s4, -v53
	v_add_f16_e32 v30, v30, v58
	v_add_f16_e32 v58, v57, v61
	v_mul_f16_e32 v57, 0x3beb, v23
	v_fma_f16 v53, v19, s4, v53
	v_add_f16_e32 v60, v53, v60
	v_fma_f16 v53, v20, s4, -v57
	v_add_f16_e32 v61, v53, v62
	v_mul_f16_e32 v53, 0xb853, v24
	v_fma_f16 v59, v20, s4, v57
	v_fma_f16 v57, v19, s2, -v53
	v_add_f16_e32 v62, v57, v65
	v_mul_f16_e32 v57, 0xb853, v23
	v_fma_f16 v53, v19, s2, v53
	v_add_f16_e32 v63, v53, v63
	v_fma_f16 v53, v20, s2, -v57
	v_add_f16_e32 v65, v53, v66
	v_mul_f16_e32 v53, 0xb482, v24
	v_add_f16_e32 v59, v59, v64
	v_fma_f16 v64, v20, s2, v57
	v_fma_f16 v57, v19, s14, -v53
	v_add_f16_e32 v66, v57, v69
	v_mul_f16_e32 v57, 0xb482, v23
	v_fma_f16 v53, v19, s14, v53
	v_add_f16_e32 v76, v76, v78
	v_add_f16_e32 v75, v75, v79
	;; [unrolled: 1-line block ×4, first 2 shown]
	v_fma_f16 v53, v20, s14, -v57
	v_mul_f16_e32 v24, 0x3b47, v24
	v_add_f16_e32 v77, v77, v80
	v_add_f16_e32 v72, v72, v76
	;; [unrolled: 1-line block ×4, first 2 shown]
	v_fma_f16 v68, v20, s14, v57
	v_add_f16_e32 v69, v53, v70
	v_fma_f16 v53, v19, s3, -v24
	v_mul_f16_e32 v23, 0x3b47, v23
	v_fma_f16 v19, v19, s3, v24
	v_add_f16_e32 v73, v73, v77
	v_add_f16_e32 v68, v68, v72
	;; [unrolled: 1-line block ×3, first 2 shown]
	v_fma_f16 v53, v20, s3, v23
	v_add_f16_e32 v72, v19, v18
	v_fma_f16 v18, v20, s3, -v23
	v_sub_f16_e32 v76, v21, v22
	v_sub_f16_e32 v77, v55, v56
	v_add_f16_e32 v71, v53, v73
	v_add_f16_e32 v73, v18, v17
	;; [unrolled: 1-line block ×4, first 2 shown]
	v_mul_f16_e32 v18, 0xb482, v77
	v_mul_f16_e32 v19, 0xb482, v76
	v_fma_f16 v17, v74, s14, -v18
	v_fma_f16 v20, v75, s14, v19
	v_fma_f16 v18, v74, s14, v18
	v_add_f16_e32 v53, v20, v26
	v_add_f16_e32 v22, v18, v25
	v_fma_f16 v18, v75, s14, -v19
	v_mul_f16_e32 v19, 0x3853, v77
	v_mul_f16_e32 v20, 0x3853, v76
	v_add_f16_e32 v57, v18, v54
	v_fma_f16 v18, v74, s2, -v19
	v_fma_f16 v21, v75, s2, v20
	v_fma_f16 v19, v74, s2, v19
	v_add_f16_e32 v54, v21, v59
	v_add_f16_e32 v21, v19, v60
	v_fma_f16 v19, v75, s2, -v20
	v_mul_f16_e32 v20, 0xba0c, v77
	v_mul_f16_e32 v23, 0xba0c, v76
	v_add_f16_e32 v17, v17, v30
	v_add_f16_e32 v56, v19, v61
	v_fma_f16 v19, v74, s5, -v20
	v_fma_f16 v24, v75, s5, v23
	v_fma_f16 v20, v74, s5, v20
	v_mul_f16_e32 v25, 0x3b47, v76
	v_mul_f16_e32 v30, 0xbbeb, v76
	v_add_f16_e32 v55, v24, v64
	v_add_f16_e32 v24, v20, v63
	v_fma_f16 v20, v75, s5, -v23
	v_mul_f16_e32 v23, 0x3b47, v77
	v_fma_f16 v26, v75, s3, v25
	v_fma_f16 v61, v75, s4, v30
	v_fma_f16 v30, v75, s4, -v30
	v_add_f16_e32 v18, v18, v58
	v_add_f16_e32 v19, v19, v62
	;; [unrolled: 1-line block ×3, first 2 shown]
	v_fma_f16 v20, v74, s3, -v23
	v_add_f16_e32 v58, v26, v68
	v_fma_f16 v25, v75, s3, -v25
	v_mul_f16_e32 v26, 0xbbeb, v77
	v_add_f16_e32 v62, v30, v73
	v_lshl_add_u32 v30, v27, 2, v29
	v_pack_b32_f16 v63, v51, v52
	v_add_f16_e32 v20, v20, v66
	v_add_f16_e32 v60, v25, v69
	v_fma_f16 v25, v74, s4, -v26
	v_fma_f16 v26, v74, s4, v26
	ds_write_b32 v30, v63
	v_pack_b32_f16 v63, v17, v53
	v_pack_b32_f16 v64, v18, v54
	v_fma_f16 v23, v74, s3, v23
	v_add_f16_e32 v25, v25, v70
	v_add_f16_e32 v61, v61, v71
	;; [unrolled: 1-line block ×3, first 2 shown]
	ds_write2_b32 v30, v63, v64 offset0:34 offset1:68
	v_pack_b32_f16 v63, v19, v55
	v_pack_b32_f16 v64, v20, v58
	v_add_f16_e32 v23, v23, v67
	ds_write2_b32 v30, v63, v64 offset0:102 offset1:136
	v_pack_b32_f16 v63, v25, v61
	v_pack_b32_f16 v64, v26, v62
	ds_write2_b32 v30, v63, v64 offset0:170 offset1:204
	v_pack_b32_f16 v63, v23, v60
	v_pack_b32_f16 v65, v24, v59
	v_add_u32_e32 v64, 0x200, v30
	ds_write2_b32 v64, v63, v65 offset0:110 offset1:144
	v_pack_b32_f16 v65, v21, v56
	v_pack_b32_f16 v66, v22, v57
	v_add_u32_e32 v63, 0x400, v30
	ds_write2_b32 v63, v65, v66 offset0:50 offset1:84
	s_waitcnt lgkmcnt(0)
	s_barrier
	s_and_saveexec_b64 s[2:3], vcc
	s_cbranch_execz .LBB0_13
; %bb.12:
	global_load_dword v65, v28, s[6:7] offset:1496
	s_add_u32 s4, s6, 0x5d8
	s_addc_u32 s5, s7, 0
	global_load_dword v77, v28, s[4:5] offset:88
	global_load_dword v78, v28, s[4:5] offset:176
	;; [unrolled: 1-line block ×10, first 2 shown]
	ds_read_b32 v66, v30
	global_load_dword v87, v28, s[4:5] offset:968
	global_load_dword v88, v28, s[4:5] offset:1056
	;; [unrolled: 1-line block ×6, first 2 shown]
	s_waitcnt lgkmcnt(0)
	v_lshrrev_b32_e32 v67, 16, v66
	s_waitcnt vmcnt(16)
	v_mul_f16_sdwa v68, v67, v65 dst_sel:DWORD dst_unused:UNUSED_PAD src0_sel:DWORD src1_sel:WORD_1
	v_mul_f16_sdwa v69, v66, v65 dst_sel:DWORD dst_unused:UNUSED_PAD src0_sel:DWORD src1_sel:WORD_1
	v_fma_f16 v66, v66, v65, -v68
	v_fma_f16 v65, v67, v65, v69
	v_pack_b32_f16 v65, v66, v65
	ds_write_b32 v30, v65
	ds_read2_b32 v[65:66], v30 offset0:22 offset1:44
	ds_read2_b32 v[67:68], v30 offset0:66 offset1:88
	;; [unrolled: 1-line block ×6, first 2 shown]
	s_waitcnt lgkmcnt(5)
	v_lshrrev_b32_e32 v93, 16, v65
	s_waitcnt vmcnt(15)
	v_mul_f16_sdwa v94, v65, v77 dst_sel:DWORD dst_unused:UNUSED_PAD src0_sel:DWORD src1_sel:WORD_1
	v_lshrrev_b32_e32 v95, 16, v66
	s_waitcnt vmcnt(14)
	v_mul_f16_sdwa v96, v66, v78 dst_sel:DWORD dst_unused:UNUSED_PAD src0_sel:DWORD src1_sel:WORD_1
	s_waitcnt lgkmcnt(4)
	v_lshrrev_b32_e32 v97, 16, v67
	s_waitcnt vmcnt(13)
	v_mul_f16_sdwa v98, v67, v79 dst_sel:DWORD dst_unused:UNUSED_PAD src0_sel:DWORD src1_sel:WORD_1
	v_lshrrev_b32_e32 v99, 16, v68
	s_waitcnt vmcnt(12)
	v_mul_f16_sdwa v100, v68, v80 dst_sel:DWORD dst_unused:UNUSED_PAD src0_sel:DWORD src1_sel:WORD_1
	;; [unrolled: 7-line block ×3, first 2 shown]
	s_waitcnt lgkmcnt(2)
	v_lshrrev_b32_e32 v105, 16, v71
	s_waitcnt vmcnt(9)
	v_mul_f16_sdwa v106, v71, v83 dst_sel:DWORD dst_unused:UNUSED_PAD src0_sel:DWORD src1_sel:WORD_1
	v_lshrrev_b32_e32 v107, 16, v72
	v_mul_f16_sdwa v112, v93, v77 dst_sel:DWORD dst_unused:UNUSED_PAD src0_sel:DWORD src1_sel:WORD_1
	v_fma_f16 v93, v93, v77, v94
	v_mul_f16_sdwa v94, v95, v78 dst_sel:DWORD dst_unused:UNUSED_PAD src0_sel:DWORD src1_sel:WORD_1
	s_waitcnt vmcnt(8)
	v_mul_f16_sdwa v108, v72, v84 dst_sel:DWORD dst_unused:UNUSED_PAD src0_sel:DWORD src1_sel:WORD_1
	v_fma_f16 v95, v95, v78, v96
	v_mul_f16_sdwa v96, v97, v79 dst_sel:DWORD dst_unused:UNUSED_PAD src0_sel:DWORD src1_sel:WORD_1
	v_fma_f16 v97, v97, v79, v98
	;; [unrolled: 2-line block ×6, first 2 shown]
	v_mul_f16_sdwa v106, v107, v84 dst_sel:DWORD dst_unused:UNUSED_PAD src0_sel:DWORD src1_sel:WORD_1
	v_fma_f16 v65, v65, v77, -v112
	v_fma_f16 v66, v66, v78, -v94
	s_waitcnt lgkmcnt(1)
	v_lshrrev_b32_e32 v109, 16, v73
	s_waitcnt vmcnt(7)
	v_mul_f16_sdwa v110, v73, v85 dst_sel:DWORD dst_unused:UNUSED_PAD src0_sel:DWORD src1_sel:WORD_1
	v_lshrrev_b32_e32 v111, 16, v74
	v_fma_f16 v107, v107, v84, v108
	v_fma_f16 v67, v67, v79, -v96
	v_fma_f16 v68, v68, v80, -v98
	;; [unrolled: 1-line block ×6, first 2 shown]
	v_pack_b32_f16 v65, v65, v93
	v_pack_b32_f16 v66, v66, v95
	v_mul_f16_sdwa v108, v109, v85 dst_sel:DWORD dst_unused:UNUSED_PAD src0_sel:DWORD src1_sel:WORD_1
	v_fma_f16 v109, v109, v85, v110
	s_waitcnt vmcnt(6)
	v_mul_f16_sdwa v110, v111, v86 dst_sel:DWORD dst_unused:UNUSED_PAD src0_sel:DWORD src1_sel:WORD_1
	v_pack_b32_f16 v67, v67, v97
	v_pack_b32_f16 v68, v68, v99
	v_pack_b32_f16 v69, v69, v101
	v_pack_b32_f16 v70, v70, v103
	v_pack_b32_f16 v71, v71, v105
	v_pack_b32_f16 v72, v72, v107
	ds_write2_b32 v30, v65, v66 offset0:22 offset1:44
	ds_write2_b32 v30, v67, v68 offset0:66 offset1:88
	;; [unrolled: 1-line block ×4, first 2 shown]
	v_mul_f16_sdwa v65, v74, v86 dst_sel:DWORD dst_unused:UNUSED_PAD src0_sel:DWORD src1_sel:WORD_1
	v_fma_f16 v73, v73, v85, -v108
	v_fma_f16 v77, v74, v86, -v110
	v_fma_f16 v65, v111, v86, v65
	v_pack_b32_f16 v73, v73, v109
	v_pack_b32_f16 v65, v77, v65
	ds_write2_b32 v30, v73, v65 offset0:198 offset1:220
	s_waitcnt lgkmcnt(5)
	v_lshrrev_b32_e32 v65, 16, v75
	s_waitcnt vmcnt(5)
	v_mul_f16_sdwa v66, v65, v87 dst_sel:DWORD dst_unused:UNUSED_PAD src0_sel:DWORD src1_sel:WORD_1
	v_mul_f16_sdwa v67, v75, v87 dst_sel:DWORD dst_unused:UNUSED_PAD src0_sel:DWORD src1_sel:WORD_1
	v_fma_f16 v66, v75, v87, -v66
	v_fma_f16 v65, v65, v87, v67
	v_lshrrev_b32_e32 v68, 16, v76
	v_pack_b32_f16 v67, v66, v65
	s_waitcnt vmcnt(4)
	v_mul_f16_sdwa v65, v68, v88 dst_sel:DWORD dst_unused:UNUSED_PAD src0_sel:DWORD src1_sel:WORD_1
	v_fma_f16 v69, v76, v88, -v65
	ds_read2_b32 v[65:66], v63 offset0:30 offset1:52
	v_mul_f16_sdwa v70, v76, v88 dst_sel:DWORD dst_unused:UNUSED_PAD src0_sel:DWORD src1_sel:WORD_1
	v_fma_f16 v68, v68, v88, v70
	v_pack_b32_f16 v68, v69, v68
	ds_write2_b32 v64, v67, v68 offset0:114 offset1:136
	s_waitcnt lgkmcnt(1)
	v_lshrrev_b32_e32 v64, 16, v65
	s_waitcnt vmcnt(3)
	v_mul_f16_sdwa v67, v64, v89 dst_sel:DWORD dst_unused:UNUSED_PAD src0_sel:DWORD src1_sel:WORD_1
	v_fma_f16 v67, v65, v89, -v67
	v_mul_f16_sdwa v65, v65, v89 dst_sel:DWORD dst_unused:UNUSED_PAD src0_sel:DWORD src1_sel:WORD_1
	v_fma_f16 v64, v64, v89, v65
	v_lshrrev_b32_e32 v68, 16, v66
	v_pack_b32_f16 v67, v67, v64
	s_waitcnt vmcnt(2)
	v_mul_f16_sdwa v64, v68, v90 dst_sel:DWORD dst_unused:UNUSED_PAD src0_sel:DWORD src1_sel:WORD_1
	v_fma_f16 v69, v66, v90, -v64
	ds_read2_b32 v[64:65], v63 offset0:74 offset1:96
	v_mul_f16_sdwa v66, v66, v90 dst_sel:DWORD dst_unused:UNUSED_PAD src0_sel:DWORD src1_sel:WORD_1
	v_fma_f16 v66, v68, v90, v66
	v_pack_b32_f16 v66, v69, v66
	ds_write2_b32 v63, v67, v66 offset0:30 offset1:52
	s_waitcnt lgkmcnt(1)
	v_lshrrev_b32_e32 v66, 16, v64
	s_waitcnt vmcnt(1)
	v_mul_f16_sdwa v67, v66, v91 dst_sel:DWORD dst_unused:UNUSED_PAD src0_sel:DWORD src1_sel:WORD_1
	v_fma_f16 v67, v64, v91, -v67
	v_mul_f16_sdwa v64, v64, v91 dst_sel:DWORD dst_unused:UNUSED_PAD src0_sel:DWORD src1_sel:WORD_1
	v_fma_f16 v64, v66, v91, v64
	v_lshrrev_b32_e32 v66, 16, v65
	v_pack_b32_f16 v64, v67, v64
	s_waitcnt vmcnt(0)
	v_mul_f16_sdwa v67, v66, v92 dst_sel:DWORD dst_unused:UNUSED_PAD src0_sel:DWORD src1_sel:WORD_1
	v_fma_f16 v67, v65, v92, -v67
	v_mul_f16_sdwa v65, v65, v92 dst_sel:DWORD dst_unused:UNUSED_PAD src0_sel:DWORD src1_sel:WORD_1
	v_fma_f16 v65, v66, v92, v65
	v_pack_b32_f16 v65, v67, v65
	ds_write2_b32 v63, v64, v65 offset0:74 offset1:96
.LBB0_13:
	s_or_b64 exec, exec, s[2:3]
	s_waitcnt lgkmcnt(0)
	s_barrier
	s_and_saveexec_b64 s[2:3], vcc
	s_cbranch_execz .LBB0_15
; %bb.14:
	v_add_u32_e32 v9, 0x200, v30
	v_add_u32_e32 v11, 0x400, v30
	ds_read_b32 v51, v30
	ds_read2_b32 v[17:18], v30 offset0:22 offset1:44
	ds_read2_b32 v[19:20], v30 offset0:66 offset1:88
	;; [unrolled: 1-line block ×8, first 2 shown]
	s_waitcnt lgkmcnt(8)
	v_lshrrev_b32_e32 v52, 16, v51
	s_waitcnt lgkmcnt(7)
	v_lshrrev_b32_e32 v53, 16, v17
	v_lshrrev_b32_e32 v54, 16, v18
	s_waitcnt lgkmcnt(6)
	v_lshrrev_b32_e32 v55, 16, v19
	;; [unrolled: 3-line block ×8, first 2 shown]
	v_lshrrev_b32_e32 v36, 16, v12
.LBB0_15:
	s_or_b64 exec, exec, s[2:3]
	v_sub_f16_e32 v84, v53, v36
	v_add_f16_e32 v67, v12, v17
	v_add_f16_e32 v88, v36, v53
	s_mov_b32 s4, 0xb8d2
	v_mul_f16_e32 v103, 0xba62, v84
	v_sub_f16_e32 v86, v54, v32
	v_sub_f16_e32 v68, v17, v12
	s_mov_b32 s14, 0xba62
	v_mul_f16_e32 v104, 0xb8d2, v88
	v_fma_f16 v63, v67, s4, -v103
	v_add_f16_e32 v69, v11, v18
	v_add_f16_e32 v91, v32, v54
	s_mov_b32 s15, 0xb461
	v_mul_f16_e32 v105, 0x3bb2, v86
	v_add_f16_e32 v63, v51, v63
	v_fma_f16 v64, v68, s14, v104
	s_mov_b32 s5, 0xbacd
	v_mul_f16_e32 v108, 0xb836, v84
	v_sub_f16_e32 v70, v18, v11
	s_movk_i32 s21, 0x3bb2
	v_mul_f16_e32 v106, 0xb461, v91
	v_fma_f16 v71, v69, s15, -v105
	v_add_f16_e32 v64, v52, v64
	s_mov_b32 s16, 0xb836
	v_mul_f16_e32 v111, 0xbacd, v88
	v_fma_f16 v65, v67, s5, -v108
	v_add_f16_e32 v63, v71, v63
	v_fma_f16 v71, v70, s21, v106
	s_movk_i32 s17, 0x3722
	v_mul_f16_e32 v112, 0x3b29, v86
	v_add_f16_e32 v65, v51, v65
	v_fma_f16 v66, v68, s16, v111
	v_add_f16_e32 v64, v71, v64
	v_mul_f16_e32 v115, 0x3722, v91
	v_fma_f16 v71, v69, s17, -v112
	v_add_f16_e32 v66, v52, v66
	v_add_f16_e32 v65, v71, v65
	v_fma_f16 v71, v70, s23, v115
	v_sub_f16_e32 v89, v55, v33
	v_add_f16_e32 v66, v71, v66
	v_add_f16_e32 v71, v10, v19
	;; [unrolled: 1-line block ×3, first 2 shown]
	s_movk_i32 s18, 0x3b76
	v_mul_f16_e32 v107, 0xb5c8, v89
	v_sub_f16_e32 v72, v19, v10
	s_mov_b32 s20, 0xb5c8
	v_mul_f16_e32 v110, 0x3b76, v93
	v_fma_f16 v73, v71, s18, -v107
	v_add_f16_e32 v63, v73, v63
	v_fma_f16 v73, v72, s20, v110
	s_movk_i32 s19, 0x2de8
	v_mul_f16_e32 v116, 0xbbf7, v89
	v_add_f16_e32 v64, v73, v64
	s_mov_b32 s22, 0xbbf7
	v_mul_f16_e32 v120, 0x2de8, v93
	v_fma_f16 v73, v71, s19, -v116
	v_add_f16_e32 v65, v73, v65
	v_fma_f16 v73, v72, s22, v120
	v_sub_f16_e32 v92, v58, v34
	v_add_f16_e32 v66, v73, v66
	v_add_f16_e32 v73, v9, v20
	;; [unrolled: 1-line block ×3, first 2 shown]
	v_mul_f16_e32 v109, 0xb836, v92
	v_sub_f16_e32 v75, v20, v9
	v_mul_f16_e32 v114, 0xbacd, v95
	v_fma_f16 v74, v73, s5, -v109
	v_add_f16_e32 v63, v74, v63
	v_fma_f16 v74, v75, s16, v114
	v_mul_f16_e32 v119, 0x3a62, v92
	v_add_f16_e32 v64, v74, v64
	s_movk_i32 s29, 0x3a62
	v_mul_f16_e32 v124, 0xb8d2, v95
	v_fma_f16 v74, v73, s4, -v119
	v_add_f16_e32 v65, v74, v65
	v_fma_f16 v74, v75, s29, v124
	v_sub_f16_e32 v94, v61, v35
	v_add_f16_e32 v66, v74, v66
	v_add_f16_e32 v74, v14, v25
	;; [unrolled: 1-line block ×3, first 2 shown]
	v_mul_f16_e32 v113, 0x3bf7, v94
	v_sub_f16_e32 v77, v25, v14
	s_movk_i32 s31, 0x3bf7
	v_mul_f16_e32 v118, 0x2de8, v97
	v_fma_f16 v76, v74, s19, -v113
	v_add_f16_e32 v63, v76, v63
	v_fma_f16 v76, v77, s31, v118
	v_mul_f16_e32 v123, 0xb5c8, v94
	v_add_f16_e32 v64, v76, v64
	v_mul_f16_e32 v127, 0x3b76, v97
	v_fma_f16 v76, v74, s18, -v123
	v_add_f16_e32 v65, v76, v65
	v_fma_f16 v76, v77, s20, v127
	v_sub_f16_e32 v96, v62, v50
	v_add_f16_e32 v66, v76, v66
	v_add_f16_e32 v76, v13, v26
	;; [unrolled: 1-line block ×3, first 2 shown]
	s_movk_i32 s25, 0x39e9
	v_mul_f16_e32 v117, 0xb964, v96
	v_sub_f16_e32 v78, v26, v13
	s_mov_b32 s27, 0xb964
	v_mul_f16_e32 v122, 0x39e9, v99
	v_fma_f16 v79, v76, s25, -v117
	v_add_f16_e32 v63, v79, v63
	v_fma_f16 v79, v78, s27, v122
	s_mov_b32 s24, 0xbbdd
	v_mul_f16_e32 v128, 0xb1e1, v96
	v_add_f16_e32 v64, v79, v64
	s_mov_b32 s26, 0xb1e1
	v_mul_f16_e32 v131, 0xbbdd, v99
	v_fma_f16 v79, v76, s24, -v128
	v_add_f16_e32 v65, v79, v65
	v_fma_f16 v79, v78, s26, v131
	v_sub_f16_e32 v98, v60, v57
	v_add_f16_e32 v66, v79, v66
	v_add_f16_e32 v79, v22, v23
	;; [unrolled: 1-line block ×3, first 2 shown]
	v_mul_f16_e32 v121, 0xb1e1, v98
	v_sub_f16_e32 v81, v23, v22
	v_mul_f16_e32 v126, 0xbbdd, v101
	v_fma_f16 v80, v79, s24, -v121
	v_add_f16_e32 v63, v80, v63
	v_fma_f16 v80, v81, s26, v126
	v_mul_f16_e32 v130, 0x3964, v98
	v_add_f16_e32 v64, v80, v64
	s_movk_i32 s30, 0x3964
	v_mul_f16_e32 v133, 0x39e9, v101
	v_fma_f16 v80, v79, s25, -v130
	v_add_f16_e32 v65, v80, v65
	v_fma_f16 v80, v81, s30, v133
	v_sub_f16_e32 v100, v59, v56
	v_add_f16_e32 v66, v80, v66
	v_add_f16_e32 v80, v21, v24
	v_add_f16_e32 v102, v56, v59
	v_mul_f16_e32 v125, 0x3b29, v100
	v_sub_f16_e32 v82, v24, v21
	v_mul_f16_e32 v129, 0x3722, v102
	v_fma_f16 v83, v80, s17, -v125
	v_add_f16_e32 v63, v83, v63
	v_fma_f16 v83, v82, s23, v129
	v_mul_f16_e32 v132, 0xbbb2, v100
	v_add_f16_e32 v64, v83, v64
	s_mov_b32 s28, 0xbbb2
	v_mul_f16_e32 v134, 0xb461, v102
	v_fma_f16 v83, v80, s15, -v132
	v_add_f16_e32 v65, v83, v65
	v_fma_f16 v83, v82, s28, v134
	v_add_f16_e32 v66, v83, v66
	s_barrier
	s_and_saveexec_b64 s[2:3], vcc
	s_cbranch_execz .LBB0_17
; %bb.16:
	v_mul_f16_e32 v135, 0xb8d2, v67
	v_mul_f16_e32 v136, 0xba62, v68
	;; [unrolled: 1-line block ×3, first 2 shown]
	v_add_f16_e32 v103, v135, v103
	v_mul_f16_e32 v140, 0x3bb2, v70
	v_mul_f16_e32 v143, 0x3b76, v71
	v_sub_f16_e32 v104, v104, v136
	v_add_f16_e32 v103, v51, v103
	v_add_f16_e32 v105, v139, v105
	v_mul_f16_e32 v144, 0xb5c8, v72
	v_mul_f16_e32 v147, 0xbacd, v73
	v_add_f16_e32 v104, v52, v104
	v_sub_f16_e32 v106, v106, v140
	v_add_f16_e32 v103, v105, v103
	v_add_f16_e32 v105, v143, v107
	v_mul_f16_e32 v148, 0xb836, v75
	v_mul_f16_e32 v151, 0x2de8, v74
	v_add_f16_e32 v104, v106, v104
	v_sub_f16_e32 v106, v110, v144
	v_add_f16_e32 v103, v105, v103
	v_add_f16_e32 v105, v147, v109
	v_mul_f16_e32 v152, 0x3bf7, v77
	v_mul_f16_e32 v155, 0x39e9, v76
	v_add_f16_e32 v104, v106, v104
	v_sub_f16_e32 v106, v114, v148
	v_add_f16_e32 v103, v105, v103
	v_add_f16_e32 v105, v151, v113
	v_mul_f16_e32 v137, 0xbacd, v67
	v_mul_f16_e32 v156, 0xb964, v78
	;; [unrolled: 1-line block ×3, first 2 shown]
	v_add_f16_e32 v104, v106, v104
	v_sub_f16_e32 v106, v118, v152
	v_add_f16_e32 v103, v105, v103
	v_add_f16_e32 v105, v155, v117
	v_mul_f16_e32 v141, 0x3722, v69
	v_mul_f16_e32 v160, 0xb1e1, v81
	;; [unrolled: 1-line block ×3, first 2 shown]
	v_add_f16_e32 v108, v137, v108
	v_add_f16_e32 v104, v106, v104
	v_sub_f16_e32 v106, v122, v156
	v_add_f16_e32 v103, v105, v103
	v_add_f16_e32 v105, v159, v121
	v_mul_f16_e32 v145, 0x2de8, v71
	v_mul_f16_e32 v164, 0x3b29, v82
	v_add_f16_e32 v108, v51, v108
	v_add_f16_e32 v112, v141, v112
	;; [unrolled: 1-line block ×3, first 2 shown]
	v_sub_f16_e32 v106, v126, v160
	v_add_f16_e32 v103, v105, v103
	v_add_f16_e32 v105, v163, v125
	v_mul_f16_e32 v149, 0xb8d2, v73
	v_add_f16_e32 v108, v112, v108
	v_add_f16_e32 v112, v145, v116
	;; [unrolled: 1-line block ×3, first 2 shown]
	v_sub_f16_e32 v106, v129, v164
	v_add_f16_e32 v103, v105, v103
	v_mul_f16_e32 v105, 0xb461, v88
	v_mul_f16_e32 v153, 0x3b76, v74
	v_add_f16_e32 v108, v112, v108
	v_add_f16_e32 v112, v149, v119
	;; [unrolled: 1-line block ×3, first 2 shown]
	v_fma_f16 v106, v68, s21, v105
	v_mul_f16_e32 v107, 0xbacd, v91
	v_mul_f16_e32 v157, 0xbbdd, v76
	v_add_f16_e32 v108, v112, v108
	v_add_f16_e32 v112, v153, v123
	;; [unrolled: 1-line block ×3, first 2 shown]
	v_fma_f16 v109, v70, s16, v107
	v_mul_f16_e32 v138, 0xb836, v68
	v_mul_f16_e32 v161, 0x39e9, v79
	v_add_f16_e32 v108, v112, v108
	v_add_f16_e32 v112, v157, v128
	v_add_f16_e32 v106, v109, v106
	v_mul_f16_e32 v109, 0x39e9, v93
	v_mul_f16_e32 v142, 0x3b29, v70
	;; [unrolled: 1-line block ×3, first 2 shown]
	v_sub_f16_e32 v111, v111, v138
	v_add_f16_e32 v108, v112, v108
	v_add_f16_e32 v112, v161, v130
	v_fma_f16 v110, v72, s27, v109
	v_mul_f16_e32 v146, 0xbbf7, v72
	v_add_f16_e32 v111, v52, v111
	v_sub_f16_e32 v115, v115, v142
	v_add_f16_e32 v108, v112, v108
	v_add_f16_e32 v112, v165, v132
	;; [unrolled: 1-line block ×3, first 2 shown]
	v_mul_f16_e32 v110, 0x3722, v95
	v_mul_f16_e32 v150, 0x3a62, v75
	v_add_f16_e32 v111, v115, v111
	v_sub_f16_e32 v115, v120, v146
	v_add_f16_e32 v108, v112, v108
	v_fma_f16 v112, v75, s23, v110
	v_mul_f16_e32 v154, 0xb5c8, v77
	v_add_f16_e32 v111, v115, v111
	v_sub_f16_e32 v115, v124, v150
	v_add_f16_e32 v106, v112, v106
	v_mul_f16_e32 v112, 0xbbdd, v97
	s_movk_i32 s36, 0x31e1
	v_mul_f16_e32 v158, 0xb1e1, v78
	v_add_f16_e32 v111, v115, v111
	v_sub_f16_e32 v115, v127, v154
	v_fma_f16 v113, v77, s36, v112
	v_mul_f16_e32 v162, 0x3964, v81
	v_add_f16_e32 v111, v115, v111
	v_sub_f16_e32 v115, v131, v158
	v_add_f16_e32 v106, v113, v106
	v_mul_f16_e32 v113, 0x2de8, v99
	v_mul_f16_e32 v166, 0xbbb2, v82
	v_add_f16_e32 v111, v115, v111
	v_sub_f16_e32 v115, v133, v162
	v_fma_f16 v114, v78, s22, v113
	s_movk_i32 s33, 0x35c8
	v_add_f16_e32 v111, v115, v111
	v_sub_f16_e32 v115, v134, v166
	v_add_f16_e32 v106, v114, v106
	v_mul_f16_e32 v114, 0x3b76, v101
	v_add_f16_e32 v111, v115, v111
	v_fma_f16 v115, v81, s33, v114
	v_add_f16_e32 v106, v115, v106
	v_mul_f16_e32 v115, 0xb8d2, v102
	v_fma_f16 v116, v82, s29, v115
	v_add_f16_e32 v106, v116, v106
	v_mul_f16_e32 v116, 0xbbb2, v84
	v_fma_f16 v117, v67, s15, v116
	v_mul_f16_e32 v118, 0x3836, v86
	v_add_f16_e32 v117, v51, v117
	v_fma_f16 v119, v69, s5, v118
	v_add_f16_e32 v117, v119, v117
	v_mul_f16_e32 v119, 0x3964, v89
	v_fma_f16 v120, v71, s25, v119
	v_add_f16_e32 v117, v120, v117
	v_mul_f16_e32 v120, 0xbb29, v92
	v_fma_f16 v121, v73, s17, v120
	v_add_f16_e32 v117, v121, v117
	v_mul_f16_e32 v121, 0xb1e1, v94
	v_fma_f16 v122, v74, s24, v121
	v_add_f16_e32 v117, v122, v117
	v_mul_f16_e32 v122, 0x3bf7, v96
	v_fma_f16 v123, v76, s19, v122
	v_add_f16_e32 v117, v123, v117
	v_mul_f16_e32 v123, 0xb5c8, v98
	v_fma_f16 v124, v79, s18, v123
	v_add_f16_e32 v117, v124, v117
	v_mul_f16_e32 v124, 0xba62, v100
	v_fma_f16 v125, v80, s4, v124
	v_add_f16_e32 v117, v125, v117
	v_mul_f16_e32 v125, 0x2de8, v88
	v_fma_f16 v126, v68, s31, v125
	v_mul_f16_e32 v127, 0xbbdd, v91
	v_add_f16_e32 v126, v52, v126
	v_fma_f16 v128, v70, s36, v127
	v_add_f16_e32 v126, v128, v126
	v_mul_f16_e32 v128, 0xb461, v93
	v_fma_f16 v129, v72, s28, v128
	v_add_f16_e32 v126, v129, v126
	v_mul_f16_e32 v129, 0x3b76, v95
	;; [unrolled: 3-line block ×3, first 2 shown]
	v_fma_f16 v131, v77, s23, v130
	s_movk_i32 s35, 0x3836
	v_add_f16_e32 v126, v131, v126
	v_mul_f16_e32 v131, 0xbacd, v99
	v_fma_f16 v132, v78, s35, v131
	v_add_f16_e32 v126, v132, v126
	v_mul_f16_e32 v132, 0xb8d2, v101
	v_fma_f16 v133, v81, s14, v132
	v_add_f16_e32 v126, v133, v126
	v_mul_f16_e32 v133, 0x39e9, v102
	v_add_f16_e32 v17, v17, v51
	v_fma_f16 v134, v82, s27, v133
	v_add_f16_e32 v17, v18, v17
	v_add_f16_e32 v126, v134, v126
	v_mul_f16_e32 v134, 0xbbf7, v84
	v_add_f16_e32 v17, v19, v17
	v_fma_f16 v135, v67, s19, v134
	v_mul_f16_e32 v136, 0xb1e1, v86
	v_add_f16_e32 v17, v20, v17
	v_add_f16_e32 v135, v51, v135
	v_fma_f16 v137, v69, s24, v136
	v_add_f16_e32 v17, v25, v17
	v_add_f16_e32 v135, v137, v135
	v_mul_f16_e32 v137, 0x3bb2, v89
	v_add_f16_e32 v17, v26, v17
	v_fma_f16 v138, v71, s15, v137
	v_add_f16_e32 v17, v23, v17
	v_add_f16_e32 v135, v138, v135
	v_mul_f16_e32 v138, 0x35c8, v92
	;; [unrolled: 5-line block ×5, first 2 shown]
	v_add_f16_e32 v9, v10, v9
	v_fma_f16 v142, v79, s4, v141
	v_add_f16_e32 v9, v11, v9
	v_fma_f16 v11, v68, s28, v105
	v_add_f16_e32 v135, v142, v135
	v_mul_f16_e32 v142, 0x3964, v100
	v_add_f16_e32 v9, v12, v9
	v_add_f16_e32 v11, v52, v11
	v_fma_f16 v12, v70, s35, v107
	s_mov_b32 s34, 0xbb29
	v_fma_f16 v143, v80, s25, v142
	v_add_f16_e32 v11, v12, v11
	v_fma_f16 v12, v72, s30, v109
	v_add_f16_e32 v135, v143, v135
	v_mul_f16_e32 v143, 0x3722, v88
	v_add_f16_e32 v11, v12, v11
	v_fma_f16 v12, v75, s34, v110
	v_fma_f16 v144, v68, s23, v143
	v_mul_f16_e32 v145, 0xb8d2, v91
	v_add_f16_e32 v11, v12, v11
	v_fma_f16 v12, v77, s26, v112
	v_add_f16_e32 v144, v52, v144
	v_fma_f16 v146, v70, s29, v145
	;; [unrolled: 2-line block ×3, first 2 shown]
	v_add_f16_e32 v144, v146, v144
	v_mul_f16_e32 v146, 0xbbdd, v93
	v_add_f16_e32 v11, v12, v11
	v_fma_f16 v12, v81, s20, v114
	v_fma_f16 v147, v72, s26, v146
	v_add_f16_e32 v11, v12, v11
	v_fma_f16 v12, v82, s14, v115
	v_add_f16_e32 v144, v147, v144
	v_mul_f16_e32 v147, 0xb461, v95
	v_add_f16_e32 v11, v12, v11
	v_fma_f16 v12, v67, s15, -v116
	v_fma_f16 v148, v75, s28, v147
	v_add_f16_e32 v12, v51, v12
	v_fma_f16 v13, v69, s5, -v118
	v_add_f16_e32 v144, v148, v144
	v_mul_f16_e32 v148, 0x39e9, v97
	v_add_f16_e32 v12, v13, v12
	v_fma_f16 v13, v71, s25, -v119
	v_fma_f16 v149, v77, s27, v148
	v_add_f16_e32 v12, v13, v12
	v_fma_f16 v13, v73, s17, -v120
	;; [unrolled: 7-line block ×4, first 2 shown]
	v_add_f16_e32 v144, v151, v144
	v_mul_f16_e32 v151, 0xbacd, v102
	v_add_f16_e32 v12, v13, v12
	v_fma_f16 v13, v68, s22, v125
	v_fma_f16 v152, v82, s35, v151
	v_add_f16_e32 v13, v52, v13
	v_fma_f16 v14, v70, s26, v127
	v_mul_f16_e32 v87, 0xb1e1, v68
	v_add_f16_e32 v144, v152, v144
	v_mul_f16_e32 v152, 0xbb29, v84
	v_add_f16_e32 v13, v14, v13
	v_fma_f16 v14, v72, s21, v128
	v_fma_f16 v83, v88, s24, v87
	v_mul_f16_e32 v90, 0x35c8, v70
	v_fma_f16 v153, v67, s17, v152
	v_mul_f16_e32 v154, 0xba62, v86
	v_add_f16_e32 v13, v14, v13
	v_fma_f16 v14, v75, s33, v129
	v_add_f16_e32 v83, v52, v83
	v_fma_f16 v85, v91, s18, v90
	v_mul_f16_e32 v167, 0xb836, v72
	v_add_f16_e32 v153, v51, v153
	v_fma_f16 v155, v69, s4, v154
	v_add_f16_e32 v13, v14, v13
	v_fma_f16 v14, v77, s34, v130
	;; [unrolled: 2-line block ×3, first 2 shown]
	v_mul_f16_e32 v168, 0x3964, v75
	v_add_f16_e32 v153, v155, v153
	v_mul_f16_e32 v155, 0x31e1, v89
	v_add_f16_e32 v13, v14, v13
	v_fma_f16 v14, v78, s16, v131
	v_add_f16_e32 v83, v85, v83
	v_fma_f16 v85, v95, s25, v168
	v_mul_f16_e32 v169, 0xba62, v77
	v_fma_f16 v156, v71, s24, v155
	v_add_f16_e32 v13, v14, v13
	v_fma_f16 v14, v81, s29, v132
	v_add_f16_e32 v83, v85, v83
	v_fma_f16 v85, v97, s4, v169
	v_mul_f16_e32 v170, 0x3b29, v78
	v_add_f16_e32 v153, v156, v153
	v_mul_f16_e32 v156, 0x3bb2, v92
	v_add_f16_e32 v13, v14, v13
	v_fma_f16 v14, v82, s30, v133
	v_add_f16_e32 v83, v85, v83
	v_fma_f16 v85, v99, s17, v170
	v_mul_f16_e32 v171, 0xbbb2, v81
	v_fma_f16 v157, v73, s15, v156
	v_add_f16_e32 v13, v14, v13
	v_fma_f16 v14, v67, s19, -v134
	v_add_f16_e32 v83, v85, v83
	v_fma_f16 v85, v101, s15, v171
	v_mul_f16_e32 v172, 0x3bf7, v82
	v_fma_f16 v87, v88, s24, -v87
	v_add_f16_e32 v153, v157, v153
	v_mul_f16_e32 v157, 0x3964, v94
	v_add_f16_e32 v14, v51, v14
	v_fma_f16 v17, v69, s24, -v136
	v_add_f16_e32 v83, v85, v83
	v_fma_f16 v85, v102, s19, v172
	v_mul_f16_e32 v173, 0xb1e1, v84
	v_add_f16_e32 v87, v52, v87
	v_fma_f16 v90, v91, s18, -v90
	v_fma_f16 v158, v74, s25, v157
	v_add_f16_e32 v14, v17, v14
	v_fma_f16 v17, v71, s15, -v137
	v_add_f16_e32 v83, v85, v83
	v_fma_f16 v85, v67, s24, -v173
	v_mul_f16_e32 v174, 0x35c8, v86
	v_add_f16_e32 v87, v90, v87
	v_fma_f16 v90, v93, s5, -v167
	v_add_f16_e32 v153, v158, v153
	v_mul_f16_e32 v158, 0xb5c8, v96
	v_add_f16_e32 v14, v17, v14
	v_fma_f16 v17, v73, s18, -v138
	v_add_f16_e32 v85, v51, v85
	v_fma_f16 v175, v69, s18, -v174
	;; [unrolled: 2-line block ×3, first 2 shown]
	v_fma_f16 v159, v76, s18, v158
	v_add_f16_e32 v14, v17, v14
	v_fma_f16 v17, v74, s17, -v139
	v_add_f16_e32 v85, v175, v85
	v_mul_f16_e32 v175, 0xb836, v89
	v_add_f16_e32 v87, v90, v87
	v_fma_f16 v90, v97, s4, -v169
	v_add_f16_e32 v153, v159, v153
	v_mul_f16_e32 v159, 0xbbf7, v98
	v_add_f16_e32 v14, v17, v14
	v_fma_f16 v17, v76, s5, -v140
	v_fma_f16 v176, v71, s5, -v175
	v_add_f16_e32 v87, v90, v87
	v_fma_f16 v90, v99, s17, -v170
	v_fma_f16 v160, v79, s19, v159
	v_add_f16_e32 v14, v17, v14
	v_fma_f16 v17, v79, s4, -v141
	v_add_f16_e32 v85, v176, v85
	v_mul_f16_e32 v176, 0x3964, v92
	v_add_f16_e32 v87, v90, v87
	v_fma_f16 v90, v101, s15, -v171
	v_add_f16_e32 v153, v160, v153
	v_mul_f16_e32 v160, 0xb836, v100
	v_add_f16_e32 v14, v17, v14
	v_fma_f16 v17, v80, s25, -v142
	v_fma_f16 v177, v73, s25, -v176
	v_add_f16_e32 v87, v90, v87
	v_fma_f16 v90, v102, s19, -v172
	v_fma_f16 v161, v80, s5, v160
	v_add_f16_e32 v14, v17, v14
	v_fma_f16 v17, v68, s34, v143
	v_add_f16_e32 v85, v177, v85
	v_mul_f16_e32 v177, 0xba62, v94
	v_add_f16_e32 v87, v90, v87
	v_fma_f16 v90, v67, s24, v173
	v_add_f16_e32 v153, v161, v153
	v_mul_f16_e32 v161, 0x39e9, v88
	v_add_f16_e32 v17, v52, v17
	v_fma_f16 v18, v70, s14, v145
	v_fma_f16 v178, v74, s4, -v177
	v_add_f16_e32 v90, v51, v90
	v_fma_f16 v167, v69, s18, v174
	v_fma_f16 v162, v68, s30, v161
	v_mul_f16_e32 v163, 0x2de8, v91
	v_add_f16_e32 v17, v18, v17
	v_fma_f16 v18, v72, s36, v146
	v_add_f16_e32 v85, v178, v85
	v_mul_f16_e32 v178, 0x3b29, v96
	v_add_f16_e32 v90, v167, v90
	v_fma_f16 v167, v71, s5, v175
	v_add_f16_e32 v162, v52, v162
	v_fma_f16 v164, v70, s31, v163
	v_add_f16_e32 v17, v18, v17
	v_fma_f16 v18, v75, s21, v147
	v_fma_f16 v179, v76, s17, -v178
	v_add_f16_e32 v90, v167, v90
	v_fma_f16 v167, v73, s25, v176
	v_add_f16_e32 v162, v164, v162
	v_mul_f16_e32 v164, 0xb8d2, v93
	v_add_f16_e32 v17, v18, v17
	v_fma_f16 v18, v77, s30, v148
	v_add_f16_e32 v85, v179, v85
	v_mul_f16_e32 v179, 0xbbb2, v98
	v_add_f16_e32 v90, v167, v90
	v_fma_f16 v167, v74, s4, v177
	v_fma_f16 v165, v72, s29, v164
	v_add_f16_e32 v17, v18, v17
	v_fma_f16 v18, v78, s20, v149
	v_fma_f16 v180, v79, s15, -v179
	v_add_f16_e32 v90, v167, v90
	v_fma_f16 v167, v76, s17, v178
	v_add_f16_e32 v162, v165, v162
	v_mul_f16_e32 v165, 0xbbdd, v95
	v_add_f16_e32 v17, v18, v17
	v_fma_f16 v18, v81, s22, v150
	v_add_f16_e32 v85, v180, v85
	v_mul_f16_e32 v180, 0x3bf7, v100
	v_add_f16_e32 v90, v167, v90
	v_fma_f16 v167, v79, s15, v179
	v_fma_f16 v166, v75, s36, v165
	v_add_f16_e32 v17, v18, v17
	v_fma_f16 v18, v82, s16, v151
	v_add_f16_e32 v90, v167, v90
	v_fma_f16 v167, v80, s19, v180
	v_add_f16_e32 v162, v166, v162
	v_mul_f16_e32 v166, 0xbacd, v97
	v_add_f16_e32 v17, v18, v17
	v_fma_f16 v18, v67, s17, -v152
	v_add_f16_e32 v90, v167, v90
	v_fma_f16 v167, v77, s16, v166
	v_add_f16_e32 v18, v51, v18
	v_fma_f16 v19, v69, s4, -v154
	v_add_f16_e32 v162, v167, v162
	v_mul_f16_e32 v167, 0xb461, v99
	v_add_f16_e32 v18, v19, v18
	v_fma_f16 v19, v71, s24, -v155
	v_fma_f16 v168, v78, s28, v167
	v_add_f16_e32 v18, v19, v18
	v_fma_f16 v19, v73, s15, -v156
	v_add_f16_e32 v162, v168, v162
	v_mul_f16_e32 v168, 0x3722, v101
	v_add_f16_e32 v18, v19, v18
	v_fma_f16 v19, v74, s25, -v157
	;; [unrolled: 7-line block ×3, first 2 shown]
	v_fma_f16 v170, v82, s20, v169
	v_add_f16_e32 v18, v19, v18
	v_fma_f16 v19, v80, s5, -v160
	v_add_f16_e32 v162, v170, v162
	v_mul_f16_e32 v170, 0xb964, v84
	v_add_f16_e32 v18, v19, v18
	v_fma_f16 v19, v68, s27, v161
	v_fma_f16 v171, v67, s25, v170
	v_mul_f16_e32 v172, 0xbbf7, v86
	v_add_f16_e32 v19, v52, v19
	v_fma_f16 v20, v70, s22, v163
	v_add_f16_e32 v171, v51, v171
	v_fma_f16 v173, v69, s19, v172
	;; [unrolled: 2-line block ×3, first 2 shown]
	v_add_f16_e32 v171, v173, v171
	v_mul_f16_e32 v173, 0xba62, v89
	v_add_f16_e32 v19, v20, v19
	v_fma_f16 v20, v75, s26, v165
	v_fma_f16 v174, v71, s4, v173
	v_add_f16_e32 v19, v20, v19
	v_fma_f16 v20, v77, s35, v166
	v_add_f16_e32 v171, v174, v171
	v_mul_f16_e32 v174, 0xb1e1, v92
	v_add_f16_e32 v19, v20, v19
	v_fma_f16 v20, v78, s21, v167
	v_fma_f16 v175, v73, s24, v174
	v_add_f16_e32 v19, v20, v19
	v_fma_f16 v20, v81, s23, v168
	v_add_f16_e32 v171, v175, v171
	v_mul_f16_e32 v175, 0x3836, v94
	v_add_f16_e32 v19, v20, v19
	v_fma_f16 v20, v82, s33, v169
	v_fma_f16 v176, v74, s5, v175
	v_add_f16_e32 v19, v20, v19
	v_fma_f16 v20, v67, s25, -v170
	v_add_f16_e32 v171, v176, v171
	v_mul_f16_e32 v176, 0x3bb2, v96
	v_add_f16_e32 v20, v51, v20
	v_fma_f16 v21, v69, s19, -v172
	v_fma_f16 v177, v76, s15, v176
	v_add_f16_e32 v20, v21, v20
	v_fma_f16 v21, v71, s4, -v173
	v_add_f16_e32 v171, v177, v171
	v_mul_f16_e32 v177, 0x3b29, v98
	v_add_f16_e32 v20, v21, v20
	v_fma_f16 v21, v73, s24, -v174
	;; [unrolled: 7-line block ×3, first 2 shown]
	v_fma_f16 v179, v80, s18, v178
	v_mul_f16_e32 v88, 0x3b76, v88
	v_add_f16_e32 v20, v21, v20
	v_fma_f16 v21, v79, s17, -v177
	v_add_f16_e32 v171, v179, v171
	v_fma_f16 v179, v68, s33, v88
	v_mul_f16_e32 v91, 0x39e9, v91
	v_add_f16_e32 v20, v21, v20
	v_fma_f16 v21, v80, s18, -v178
	v_fma_f16 v181, v80, s19, -v180
	v_add_f16_e32 v179, v52, v179
	v_fma_f16 v180, v70, s30, v91
	v_mul_f16_e32 v93, 0x3722, v93
	v_add_f16_e32 v10, v53, v52
	v_add_f16_e32 v20, v21, v20
	v_fma_f16 v21, v68, s20, v88
	v_add_f16_e32 v179, v180, v179
	v_fma_f16 v180, v72, s23, v93
	v_mul_f16_e32 v95, 0x2de8, v95
	v_add_f16_e32 v10, v54, v10
	v_add_f16_e32 v21, v52, v21
	v_fma_f16 v22, v70, s27, v91
	;; [unrolled: 6-line block ×8, first 2 shown]
	v_add_f16_e32 v85, v181, v85
	v_add_f16_e32 v180, v51, v180
	v_fma_f16 v181, v69, s25, v86
	v_mul_f16_e32 v89, 0xbb29, v89
	v_add_f16_e32 v10, v56, v10
	v_add_f16_e32 v21, v22, v21
	v_fma_f16 v22, v67, s18, -v84
	v_add_f16_e32 v180, v181, v180
	v_fma_f16 v181, v71, s17, v89
	v_mul_f16_e32 v92, 0xbbf7, v92
	v_add_f16_e32 v10, v57, v10
	v_add_f16_e32 v22, v51, v22
	v_fma_f16 v23, v69, s25, -v86
	;; [unrolled: 6-line block ×6, first 2 shown]
	v_add_f16_e32 v180, v181, v180
	v_fma_f16 v181, v80, s24, v100
	v_add_f16_e32 v10, v32, v10
	v_add_f16_e32 v22, v23, v22
	v_fma_f16 v23, v79, s5, -v98
	v_add_f16_e32 v180, v181, v180
	v_add_f16_e32 v10, v36, v10
	;; [unrolled: 1-line block ×3, first 2 shown]
	v_fma_f16 v23, v80, s24, -v100
	v_add_f16_e32 v22, v23, v22
	v_lshl_add_u32 v23, v31, 2, v29
	v_pack_b32_f16 v24, v180, v179
	v_pack_b32_f16 v9, v9, v10
	ds_write2_b32 v23, v9, v24 offset1:1
	v_pack_b32_f16 v9, v153, v144
	v_pack_b32_f16 v10, v171, v162
	ds_write2_b32 v23, v10, v9 offset0:2 offset1:3
	v_pack_b32_f16 v9, v117, v106
	v_pack_b32_f16 v10, v135, v126
	ds_write2_b32 v23, v10, v9 offset0:4 offset1:5
	;; [unrolled: 3-line block ×3, first 2 shown]
	v_pack_b32_f16 v9, v85, v83
	v_pack_b32_f16 v10, v90, v87
	s_mov_b32 s4, 0x5040100
	ds_write2_b32 v23, v10, v9 offset0:8 offset1:9
	v_perm_b32 v9, v64, v63, s4
	v_perm_b32 v10, v66, v65, s4
	ds_write2_b32 v23, v10, v9 offset0:10 offset1:11
	v_pack_b32_f16 v9, v14, v13
	v_pack_b32_f16 v10, v12, v11
	ds_write2_b32 v23, v10, v9 offset0:12 offset1:13
	v_pack_b32_f16 v9, v20, v19
	v_pack_b32_f16 v10, v18, v17
	ds_write2_b32 v23, v10, v9 offset0:14 offset1:15
	v_pack_b32_f16 v9, v22, v21
	ds_write_b32 v23, v9 offset:64
.LBB0_17:
	s_or_b64 exec, exec, s[2:3]
	s_waitcnt lgkmcnt(0)
	s_barrier
	ds_read2_b32 v[13:14], v37 offset1:34
	ds_read2_b32 v[9:10], v37 offset0:136 offset1:187
	ds_read2_b32 v[19:20], v37 offset0:221 offset1:255
	ds_read2_b32 v[11:12], v37 offset0:68 offset1:102
	v_add_u32_e32 v17, 0x400, v37
	ds_read2_b32 v[17:18], v17 offset0:33 offset1:67
	s_and_saveexec_b64 s[2:3], s[0:1]
	s_cbranch_execz .LBB0_19
; %bb.18:
	ds_read_b32 v65, v37 offset:680
	ds_read_b32 v63, v37 offset:1428
	s_waitcnt lgkmcnt(1)
	v_lshrrev_b32_e32 v66, 16, v65
	s_waitcnt lgkmcnt(0)
	v_lshrrev_b32_e32 v64, 16, v63
.LBB0_19:
	s_or_b64 exec, exec, s[2:3]
	s_waitcnt lgkmcnt(3)
	v_lshrrev_b32_e32 v22, 16, v10
	v_mul_f16_sdwa v35, v44, v22 dst_sel:DWORD dst_unused:UNUSED_PAD src0_sel:WORD_1 src1_sel:DWORD
	s_waitcnt lgkmcnt(2)
	v_lshrrev_b32_e32 v24, 16, v19
	v_fma_f16 v35, v44, v10, v35
	v_mul_f16_sdwa v10, v44, v10 dst_sel:DWORD dst_unused:UNUSED_PAD src0_sel:WORD_1 src1_sel:DWORD
	v_fma_f16 v10, v44, v22, -v10
	v_mul_f16_sdwa v22, v43, v24 dst_sel:DWORD dst_unused:UNUSED_PAD src0_sel:WORD_1 src1_sel:DWORD
	v_lshrrev_b32_e32 v26, 16, v20
	v_fma_f16 v22, v43, v19, v22
	v_mul_f16_sdwa v19, v43, v19 dst_sel:DWORD dst_unused:UNUSED_PAD src0_sel:WORD_1 src1_sel:DWORD
	v_fma_f16 v19, v43, v24, -v19
	v_mul_f16_sdwa v24, v42, v26 dst_sel:DWORD dst_unused:UNUSED_PAD src0_sel:WORD_1 src1_sel:DWORD
	s_waitcnt lgkmcnt(0)
	v_lshrrev_b32_e32 v32, 16, v17
	v_fma_f16 v24, v42, v20, v24
	v_mul_f16_sdwa v20, v42, v20 dst_sel:DWORD dst_unused:UNUSED_PAD src0_sel:WORD_1 src1_sel:DWORD
	v_fma_f16 v20, v42, v26, -v20
	v_mul_f16_sdwa v26, v41, v32 dst_sel:DWORD dst_unused:UNUSED_PAD src0_sel:WORD_1 src1_sel:DWORD
	v_lshrrev_b32_e32 v34, 16, v18
	v_fma_f16 v26, v41, v17, v26
	v_mul_f16_sdwa v17, v41, v17 dst_sel:DWORD dst_unused:UNUSED_PAD src0_sel:WORD_1 src1_sel:DWORD
	v_fma_f16 v17, v41, v32, -v17
	v_mul_f16_sdwa v32, v40, v34 dst_sel:DWORD dst_unused:UNUSED_PAD src0_sel:WORD_1 src1_sel:DWORD
	v_lshrrev_b32_e32 v21, 16, v13
	v_fma_f16 v32, v40, v18, v32
	v_mul_f16_sdwa v18, v40, v18 dst_sel:DWORD dst_unused:UNUSED_PAD src0_sel:WORD_1 src1_sel:DWORD
	v_lshrrev_b32_e32 v23, 16, v14
	v_fma_f16 v18, v40, v34, -v18
	v_sub_f16_e32 v34, v13, v35
	v_sub_f16_e32 v10, v21, v10
	v_lshrrev_b32_e32 v25, 16, v11
	v_fma_f16 v13, v13, 2.0, -v34
	v_fma_f16 v21, v21, 2.0, -v10
	v_sub_f16_e32 v22, v14, v22
	v_sub_f16_e32 v19, v23, v19
	v_lshrrev_b32_e32 v31, 16, v12
	v_fma_f16 v14, v14, 2.0, -v22
	v_fma_f16 v23, v23, 2.0, -v19
	v_sub_f16_e32 v24, v11, v24
	v_sub_f16_e32 v20, v25, v20
	v_pack_b32_f16 v13, v13, v21
	v_pack_b32_f16 v10, v34, v10
	v_lshrrev_b32_e32 v33, 16, v9
	v_fma_f16 v11, v11, 2.0, -v24
	v_fma_f16 v25, v25, 2.0, -v20
	v_sub_f16_e32 v26, v12, v26
	v_sub_f16_e32 v17, v31, v17
	s_barrier
	ds_write2_b32 v45, v13, v10 offset1:17
	v_pack_b32_f16 v10, v14, v23
	v_pack_b32_f16 v13, v22, v19
	v_fma_f16 v12, v12, 2.0, -v26
	v_fma_f16 v31, v31, 2.0, -v17
	v_sub_f16_e32 v32, v9, v32
	v_sub_f16_e32 v18, v33, v18
	ds_write2_b32 v46, v10, v13 offset1:17
	v_pack_b32_f16 v10, v11, v25
	v_pack_b32_f16 v11, v24, v20
	v_fma_f16 v9, v9, 2.0, -v32
	v_fma_f16 v33, v33, 2.0, -v18
	ds_write2_b32 v47, v10, v11 offset1:17
	v_pack_b32_f16 v10, v12, v31
	v_pack_b32_f16 v11, v26, v17
	ds_write2_b32 v48, v10, v11 offset1:17
	v_pack_b32_f16 v9, v9, v33
	v_pack_b32_f16 v10, v32, v18
	ds_write2_b32 v49, v9, v10 offset1:17
	s_and_saveexec_b64 s[2:3], s[0:1]
	s_cbranch_execz .LBB0_21
; %bb.20:
	v_mul_f16_sdwa v9, v39, v64 dst_sel:DWORD dst_unused:UNUSED_PAD src0_sel:WORD_1 src1_sel:DWORD
	v_mul_f16_sdwa v11, v39, v63 dst_sel:DWORD dst_unused:UNUSED_PAD src0_sel:WORD_1 src1_sel:DWORD
	v_fma_f16 v9, v39, v63, v9
	v_fma_f16 v11, v39, v64, -v11
	v_sub_f16_e32 v9, v65, v9
	v_sub_f16_e32 v11, v66, v11
	v_and_b32_e32 v13, 0xff, v38
	v_fma_f16 v10, v65, 2.0, -v9
	v_fma_f16 v12, v66, 2.0, -v11
	v_lshl_add_u32 v13, v13, 2, v29
	v_pack_b32_f16 v10, v10, v12
	v_pack_b32_f16 v9, v9, v11
	v_add_u32_e32 v11, 0x400, v13
	ds_write2_b32 v11, v10, v9 offset0:84 offset1:101
.LBB0_21:
	s_or_b64 exec, exec, s[2:3]
	s_waitcnt lgkmcnt(0)
	s_barrier
	ds_read2_b32 v[9:10], v37 offset1:34
	ds_read2_b32 v[11:12], v37 offset0:68 offset1:102
	ds_read_b32 v21, v37 offset:544
	ds_read2_b32 v[13:14], v37 offset0:170 offset1:204
	v_add_u32_e32 v17, 0x200, v37
	s_waitcnt lgkmcnt(3)
	v_lshrrev_b32_e32 v22, 16, v10
	v_mul_f16_sdwa v35, v0, v22 dst_sel:DWORD dst_unused:UNUSED_PAD src0_sel:WORD_1 src1_sel:DWORD
	s_waitcnt lgkmcnt(2)
	v_lshrrev_b32_e32 v23, 16, v11
	v_fma_f16 v35, v0, v10, v35
	v_mul_f16_sdwa v10, v0, v10 dst_sel:DWORD dst_unused:UNUSED_PAD src0_sel:WORD_1 src1_sel:DWORD
	v_fma_f16 v0, v0, v22, -v10
	v_mul_f16_sdwa v10, v1, v23 dst_sel:DWORD dst_unused:UNUSED_PAD src0_sel:WORD_1 src1_sel:DWORD
	v_lshrrev_b32_e32 v24, 16, v12
	v_fma_f16 v10, v1, v11, v10
	v_mul_f16_sdwa v11, v1, v11 dst_sel:DWORD dst_unused:UNUSED_PAD src0_sel:WORD_1 src1_sel:DWORD
	v_fma_f16 v1, v1, v23, -v11
	v_mul_f16_sdwa v11, v2, v24 dst_sel:DWORD dst_unused:UNUSED_PAD src0_sel:WORD_1 src1_sel:DWORD
	s_waitcnt lgkmcnt(1)
	v_lshrrev_b32_e32 v25, 16, v21
	v_fma_f16 v11, v2, v12, v11
	v_mul_f16_sdwa v12, v2, v12 dst_sel:DWORD dst_unused:UNUSED_PAD src0_sel:WORD_1 src1_sel:DWORD
	ds_read2_b32 v[17:18], v17 offset0:110 offset1:144
	v_fma_f16 v2, v2, v24, -v12
	v_mul_f16_sdwa v12, v3, v25 dst_sel:DWORD dst_unused:UNUSED_PAD src0_sel:WORD_1 src1_sel:DWORD
	s_waitcnt lgkmcnt(1)
	v_lshrrev_b32_e32 v26, 16, v13
	v_fma_f16 v12, v3, v21, v12
	v_mul_f16_sdwa v21, v3, v21 dst_sel:DWORD dst_unused:UNUSED_PAD src0_sel:WORD_1 src1_sel:DWORD
	v_fma_f16 v3, v3, v25, -v21
	v_mul_f16_sdwa v21, v4, v26 dst_sel:DWORD dst_unused:UNUSED_PAD src0_sel:WORD_1 src1_sel:DWORD
	v_add_u32_e32 v19, 0x400, v37
	v_lshrrev_b32_e32 v29, 16, v14
	v_fma_f16 v21, v4, v13, v21
	v_mul_f16_sdwa v13, v4, v13 dst_sel:DWORD dst_unused:UNUSED_PAD src0_sel:WORD_1 src1_sel:DWORD
	ds_read2_b32 v[19:20], v19 offset0:50 offset1:84
	v_fma_f16 v4, v4, v26, -v13
	v_mul_f16_sdwa v13, v5, v29 dst_sel:DWORD dst_unused:UNUSED_PAD src0_sel:WORD_1 src1_sel:DWORD
	s_waitcnt lgkmcnt(1)
	v_lshrrev_b32_e32 v31, 16, v17
	v_fma_f16 v13, v5, v14, v13
	v_mul_f16_sdwa v14, v5, v14 dst_sel:DWORD dst_unused:UNUSED_PAD src0_sel:WORD_1 src1_sel:DWORD
	v_fma_f16 v5, v5, v29, -v14
	v_mul_f16_sdwa v14, v6, v31 dst_sel:DWORD dst_unused:UNUSED_PAD src0_sel:WORD_1 src1_sel:DWORD
	v_lshrrev_b32_e32 v32, 16, v18
	v_fma_f16 v14, v6, v17, v14
	v_mul_f16_sdwa v17, v6, v17 dst_sel:DWORD dst_unused:UNUSED_PAD src0_sel:WORD_1 src1_sel:DWORD
	v_fma_f16 v6, v6, v31, -v17
	v_mul_f16_sdwa v17, v7, v32 dst_sel:DWORD dst_unused:UNUSED_PAD src0_sel:WORD_1 src1_sel:DWORD
	s_waitcnt lgkmcnt(0)
	v_lshrrev_b32_e32 v33, 16, v19
	v_fma_f16 v17, v7, v18, v17
	v_mul_f16_sdwa v18, v7, v18 dst_sel:DWORD dst_unused:UNUSED_PAD src0_sel:WORD_1 src1_sel:DWORD
	v_fma_f16 v7, v7, v32, -v18
	v_mul_f16_sdwa v18, v15, v33 dst_sel:DWORD dst_unused:UNUSED_PAD src0_sel:WORD_1 src1_sel:DWORD
	v_lshrrev_b32_e32 v34, 16, v20
	v_fma_f16 v18, v15, v19, v18
	v_mul_f16_sdwa v19, v15, v19 dst_sel:DWORD dst_unused:UNUSED_PAD src0_sel:WORD_1 src1_sel:DWORD
	v_fma_f16 v15, v15, v33, -v19
	v_mul_f16_sdwa v19, v16, v34 dst_sel:DWORD dst_unused:UNUSED_PAD src0_sel:WORD_1 src1_sel:DWORD
	v_fma_f16 v19, v16, v20, v19
	v_mul_f16_sdwa v20, v16, v20 dst_sel:DWORD dst_unused:UNUSED_PAD src0_sel:WORD_1 src1_sel:DWORD
	v_fma_f16 v16, v16, v34, -v20
	v_add_f16_e32 v20, v9, v35
	v_add_f16_sdwa v22, v9, v0 dst_sel:DWORD dst_unused:UNUSED_PAD src0_sel:WORD_1 src1_sel:DWORD
	v_add_f16_e32 v20, v20, v10
	v_add_f16_e32 v22, v22, v1
	;; [unrolled: 1-line block ×17, first 2 shown]
	v_sub_f16_e32 v0, v0, v16
	v_add_f16_e32 v20, v20, v19
	v_add_f16_e32 v22, v22, v16
	;; [unrolled: 1-line block ×3, first 2 shown]
	v_sub_f16_e32 v19, v35, v19
	s_mov_b32 s5, 0xb853
	v_mul_f16_e32 v16, 0xb853, v0
	s_movk_i32 s14, 0x3abb
	v_mul_f16_e32 v26, 0x3abb, v24
	s_movk_i32 s15, 0x3853
	s_mov_b32 s1, 0xbb47
	v_mul_f16_e32 v31, 0xbb47, v0
	s_movk_i32 s2, 0x36a6
	v_mul_f16_e32 v33, 0x36a6, v24
	s_movk_i32 s3, 0x3b47
	s_mov_b32 s0, 0xbbeb
	v_mul_f16_e32 v35, 0xbbeb, v0
	s_mov_b32 s4, 0xb08e
	v_mul_f16_e32 v37, 0xb08e, v24
	s_movk_i32 s16, 0x3beb
	s_mov_b32 s17, 0xba0c
	v_mul_f16_e32 v39, 0xba0c, v0
	s_mov_b32 s18, 0xb93d
	;; [unrolled: 5-line block ×3, first 2 shown]
	v_mul_f16_e32 v24, 0xbbad, v24
	s_movk_i32 s22, 0x3482
	v_fma_f16 v25, v23, s14, v16
	v_fma_f16 v29, v19, s15, v26
	v_fma_f16 v16, v23, s14, -v16
	v_fma_f16 v26, v19, s5, v26
	v_fma_f16 v32, v23, s2, v31
	v_fma_f16 v34, v19, s3, v33
	v_fma_f16 v31, v23, s2, -v31
	v_fma_f16 v33, v19, s1, v33
	;; [unrolled: 4-line block ×5, first 2 shown]
	v_add_f16_e32 v23, v1, v15
	v_sub_f16_e32 v1, v1, v15
	v_add_f16_e32 v25, v9, v25
	v_add_f16_sdwa v29, v9, v29 dst_sel:DWORD dst_unused:UNUSED_PAD src0_sel:WORD_1 src1_sel:DWORD
	v_add_f16_e32 v16, v9, v16
	v_add_f16_sdwa v26, v9, v26 dst_sel:DWORD dst_unused:UNUSED_PAD src0_sel:WORD_1 src1_sel:DWORD
	;; [unrolled: 2-line block ×10, first 2 shown]
	v_add_f16_e32 v19, v10, v18
	v_mul_f16_e32 v15, 0xbb47, v1
	v_sub_f16_e32 v10, v10, v18
	v_fma_f16 v18, v19, s2, v15
	v_mul_f16_e32 v24, 0x36a6, v23
	v_fma_f16 v15, v19, s2, -v15
	v_add_f16_e32 v18, v18, v25
	v_fma_f16 v25, v10, s3, v24
	v_add_f16_e32 v15, v15, v16
	v_fma_f16 v16, v10, s1, v24
	v_mul_f16_e32 v24, 0xba0c, v1
	v_add_f16_e32 v25, v25, v29
	v_add_f16_e32 v16, v16, v26
	v_fma_f16 v26, v19, s18, v24
	v_mul_f16_e32 v29, 0xb93d, v23
	v_fma_f16 v24, v19, s18, -v24
	v_add_f16_e32 v26, v26, v32
	v_fma_f16 v32, v10, s19, v29
	v_add_f16_e32 v24, v24, v31
	v_fma_f16 v29, v10, s17, v29
	v_mul_f16_e32 v31, 0x3482, v1
	v_add_f16_e32 v32, v32, v34
	v_add_f16_e32 v29, v29, v33
	;; [unrolled: 10-line block ×3, first 2 shown]
	v_fma_f16 v37, v19, s4, v35
	v_mul_f16_e32 v38, 0xb08e, v23
	v_fma_f16 v35, v19, s4, -v35
	v_mul_f16_e32 v1, 0x3853, v1
	v_add_f16_e32 v37, v37, v40
	v_fma_f16 v40, v10, s0, v38
	v_add_f16_e32 v35, v35, v39
	v_fma_f16 v38, v10, s16, v38
	v_fma_f16 v39, v19, s14, v1
	v_mul_f16_e32 v23, 0x3abb, v23
	v_fma_f16 v1, v19, s14, -v1
	v_add_f16_e32 v38, v38, v41
	v_fma_f16 v41, v10, s5, v23
	v_add_f16_e32 v0, v1, v0
	v_fma_f16 v1, v10, s15, v23
	v_add_f16_e32 v10, v2, v7
	v_sub_f16_e32 v2, v2, v7
	v_add_f16_e32 v1, v1, v9
	v_add_f16_e32 v9, v11, v17
	v_mul_f16_e32 v7, 0xbbeb, v2
	v_sub_f16_e32 v11, v11, v17
	v_fma_f16 v17, v9, s4, v7
	v_add_f16_e32 v17, v17, v18
	v_mul_f16_e32 v18, 0xb08e, v10
	v_fma_f16 v7, v9, s4, -v7
	v_add_f16_e32 v7, v7, v15
	v_fma_f16 v15, v11, s0, v18
	v_add_f16_e32 v15, v15, v16
	v_mul_f16_e32 v16, 0x3482, v2
	v_fma_f16 v19, v11, s16, v18
	v_fma_f16 v18, v9, s21, v16
	v_fma_f16 v16, v9, s21, -v16
	v_mul_f16_e32 v23, 0xbbad, v10
	v_add_f16_e32 v16, v16, v24
	v_mul_f16_e32 v24, 0x3b47, v2
	v_add_f16_e32 v19, v19, v25
	v_add_f16_e32 v18, v18, v26
	v_fma_f16 v25, v11, s20, v23
	v_fma_f16 v23, v11, s22, v23
	;; [unrolled: 1-line block ×3, first 2 shown]
	v_fma_f16 v24, v9, s2, -v24
	v_add_f16_e32 v23, v23, v29
	v_mul_f16_e32 v29, 0x36a6, v10
	v_add_f16_e32 v24, v24, v31
	v_mul_f16_e32 v31, 0xb853, v2
	v_add_f16_e32 v25, v25, v32
	v_add_f16_e32 v26, v26, v33
	v_fma_f16 v32, v11, s1, v29
	v_fma_f16 v29, v11, s3, v29
	;; [unrolled: 1-line block ×3, first 2 shown]
	v_fma_f16 v31, v9, s14, -v31
	v_mul_f16_e32 v2, 0xba0c, v2
	v_add_f16_e32 v29, v29, v34
	v_mul_f16_e32 v34, 0x3abb, v10
	v_add_f16_e32 v31, v31, v35
	v_fma_f16 v35, v9, s18, v2
	v_mul_f16_e32 v10, 0xb93d, v10
	v_fma_f16 v2, v9, s18, -v2
	v_add_f16_e32 v0, v2, v0
	v_fma_f16 v2, v11, s17, v10
	v_add_f16_e32 v9, v3, v6
	v_sub_f16_e32 v3, v3, v6
	v_add_f16_e32 v1, v2, v1
	v_add_f16_e32 v2, v12, v14
	v_mul_f16_e32 v6, 0xba0c, v3
	v_add_f16_e32 v32, v32, v36
	v_add_f16_e32 v33, v33, v37
	v_fma_f16 v36, v11, s15, v34
	v_fma_f16 v34, v11, s5, v34
	;; [unrolled: 1-line block ×3, first 2 shown]
	v_sub_f16_e32 v10, v12, v14
	v_fma_f16 v11, v2, s18, v6
	v_mul_f16_e32 v12, 0xb93d, v9
	v_fma_f16 v6, v2, s18, -v6
	v_fma_f16 v14, v10, s19, v12
	v_add_f16_e32 v6, v6, v7
	v_fma_f16 v7, v10, s17, v12
	v_mul_f16_e32 v12, 0x3beb, v3
	v_add_f16_e32 v11, v11, v17
	v_add_f16_e32 v7, v7, v15
	v_fma_f16 v15, v2, s4, v12
	v_mul_f16_e32 v17, 0xb08e, v9
	v_fma_f16 v12, v2, s4, -v12
	v_add_f16_e32 v15, v15, v18
	v_fma_f16 v18, v10, s0, v17
	v_add_f16_e32 v12, v12, v16
	v_fma_f16 v16, v10, s16, v17
	v_mul_f16_e32 v17, 0xb853, v3
	v_add_f16_e32 v14, v14, v19
	v_fma_f16 v19, v2, s14, v17
	v_fma_f16 v17, v2, s14, -v17
	v_add_f16_e32 v16, v16, v23
	v_mul_f16_e32 v23, 0x3abb, v9
	v_add_f16_e32 v17, v17, v24
	v_mul_f16_e32 v24, 0xb482, v3
	v_add_f16_e32 v18, v18, v25
	v_add_f16_e32 v19, v19, v26
	v_fma_f16 v25, v10, s15, v23
	v_fma_f16 v23, v10, s5, v23
	v_fma_f16 v26, v2, s21, v24
	v_fma_f16 v24, v2, s21, -v24
	v_mul_f16_e32 v3, 0x3b47, v3
	v_add_f16_e32 v23, v23, v29
	v_mul_f16_e32 v29, 0xbbad, v9
	v_add_f16_e32 v24, v24, v31
	v_fma_f16 v31, v2, s2, v3
	v_mul_f16_e32 v9, 0x36a6, v9
	v_fma_f16 v2, v2, s2, -v3
	v_add_f16_e32 v0, v2, v0
	v_fma_f16 v2, v10, s3, v9
	v_add_f16_e32 v3, v4, v5
	v_sub_f16_e32 v4, v4, v5
	v_add_f16_e32 v1, v2, v1
	v_add_f16_e32 v2, v21, v13
	v_mul_f16_e32 v5, 0xb482, v4
	v_add_f16_e32 v25, v25, v32
	v_add_f16_e32 v26, v26, v33
	v_fma_f16 v32, v10, s22, v29
	v_fma_f16 v29, v10, s20, v29
	;; [unrolled: 1-line block ×4, first 2 shown]
	v_sub_f16_e32 v9, v21, v13
	v_add_f16_e32 v10, v10, v11
	v_mul_f16_e32 v11, 0xbbad, v3
	v_fma_f16 v5, v2, s21, -v5
	v_add_f16_e32 v5, v5, v6
	v_fma_f16 v6, v9, s20, v11
	v_fma_f16 v13, v9, s22, v11
	v_add_f16_e32 v6, v6, v7
	v_mul_f16_e32 v7, 0x3853, v4
	v_add_f16_e32 v13, v13, v14
	v_fma_f16 v11, v2, s14, v7
	v_mul_f16_e32 v14, 0x3abb, v3
	v_fma_f16 v7, v2, s14, -v7
	v_add_f16_e32 v11, v11, v15
	v_fma_f16 v15, v9, s5, v14
	v_add_f16_e32 v7, v7, v12
	v_fma_f16 v12, v9, s15, v14
	v_mul_f16_e32 v14, 0xba0c, v4
	v_add_f16_e32 v15, v15, v18
	v_add_f16_e32 v12, v12, v16
	v_fma_f16 v16, v2, s18, v14
	v_mul_f16_e32 v18, 0xb93d, v3
	v_fma_f16 v14, v2, s18, -v14
	v_add_f16_e32 v16, v16, v19
	v_fma_f16 v19, v9, s19, v18
	v_add_f16_e32 v14, v14, v17
	v_fma_f16 v17, v9, s17, v18
	v_mul_f16_e32 v18, 0x3b47, v4
	v_fma_f16 v21, v2, s2, v18
	v_fma_f16 v18, v2, s2, -v18
	v_mul_f16_e32 v4, 0xbbeb, v4
	v_add_f16_e32 v40, v40, v42
	v_add_f16_e32 v17, v17, v23
	v_mul_f16_e32 v23, 0x36a6, v3
	v_add_f16_e32 v18, v18, v24
	v_fma_f16 v24, v2, s4, v4
	v_mul_f16_e32 v3, 0xb08e, v3
	v_fma_f16 v2, v2, s4, -v4
	v_add_f16_e32 v39, v39, v43
	v_add_f16_e32 v41, v41, v44
	;; [unrolled: 1-line block ×4, first 2 shown]
	v_fma_f16 v2, v9, s0, v3
	v_add_f16_e32 v35, v35, v39
	v_add_f16_e32 v37, v37, v41
	;; [unrolled: 1-line block ×4, first 2 shown]
	v_fma_f16 v25, v9, s1, v23
	v_add_f16_e32 v1, v2, v1
	v_pack_b32_f16 v2, v20, v22
	v_add_f16_e32 v34, v34, v38
	v_add_f16_e32 v31, v31, v35
	;; [unrolled: 1-line block ×5, first 2 shown]
	v_fma_f16 v26, v9, s16, v3
	ds_write_b32 v30, v2
	v_pack_b32_f16 v2, v10, v13
	v_pack_b32_f16 v3, v11, v15
	v_add_f16_e32 v29, v29, v34
	v_fma_f16 v23, v9, s3, v23
	v_add_f16_e32 v24, v24, v31
	v_add_f16_e32 v26, v26, v33
	ds_write2_b32 v30, v2, v3 offset0:34 offset1:68
	v_pack_b32_f16 v2, v16, v19
	v_pack_b32_f16 v3, v21, v25
	v_add_f16_e32 v23, v23, v29
	ds_write2_b32 v30, v2, v3 offset0:102 offset1:136
	v_pack_b32_f16 v2, v24, v26
	v_pack_b32_f16 v0, v0, v1
	ds_write2_b32 v30, v2, v0 offset0:170 offset1:204
	v_pack_b32_f16 v0, v18, v23
	v_pack_b32_f16 v1, v14, v17
	v_add_u32_e32 v4, 0x200, v30
	ds_write2_b32 v4, v0, v1 offset0:110 offset1:144
	v_pack_b32_f16 v0, v7, v12
	v_pack_b32_f16 v1, v5, v6
	v_add_u32_e32 v3, 0x400, v30
	ds_write2_b32 v3, v0, v1 offset0:50 offset1:84
	s_waitcnt lgkmcnt(0)
	s_barrier
	s_and_b64 exec, exec, vcc
	s_cbranch_execz .LBB0_23
; %bb.22:
	global_load_dword v10, v28, s[6:7]
	v_mad_u64_u32 v[1:2], s[0:1], s10, v8, 0
	v_mad_u64_u32 v[5:6], s[0:1], s8, v27, 0
	;; [unrolled: 1-line block ×3, first 2 shown]
	ds_read_b32 v11, v30
	s_mov_b32 s14, 0xb8d015e7
	v_mad_u64_u32 v[8:9], s[0:1], s9, v27, v[6:7]
	v_mov_b32_e32 v2, v7
	s_waitcnt lgkmcnt(0)
	v_lshrrev_b32_e32 v9, 16, v11
	v_mov_b32_e32 v6, v8
	s_mov_b32 s15, 0x3f65e75b
	v_lshlrev_b64 v[1:2], 2, v[1:2]
	v_mov_b32_e32 v12, s13
	v_lshlrev_b64 v[5:6], 2, v[5:6]
	v_add_co_u32_e32 v1, vcc, s12, v1
	v_addc_co_u32_e32 v2, vcc, v12, v2, vcc
	s_movk_i32 s16, 0x1ff
	v_add_co_u32_e32 v5, vcc, v1, v5
	v_addc_co_u32_e32 v6, vcc, v2, v6, vcc
	s_movk_i32 s10, 0xffe
	v_mov_b32_e32 v0, 0x7c00
	s_movk_i32 s18, 0x40f
	s_mov_b32 s17, 0x8000
	s_mul_hi_u32 s12, s8, 0x58
	s_mul_i32 s11, s8, 0x58
	s_waitcnt vmcnt(0)
	v_mul_f16_sdwa v7, v9, v10 dst_sel:DWORD dst_unused:UNUSED_PAD src0_sel:DWORD src1_sel:WORD_1
	v_fma_f16 v7, v11, v10, v7
	v_mul_f16_sdwa v8, v11, v10 dst_sel:DWORD dst_unused:UNUSED_PAD src0_sel:DWORD src1_sel:WORD_1
	v_cvt_f32_f16_e32 v7, v7
	v_fma_f16 v8, v10, v9, -v8
	v_cvt_f32_f16_e32 v9, v8
	v_cvt_f64_f32_e32 v[7:8], v7
	v_cvt_f64_f32_e32 v[9:10], v9
	v_mul_f64 v[7:8], v[7:8], s[14:15]
	v_mul_f64 v[9:10], v[9:10], s[14:15]
	v_and_or_b32 v7, v8, s16, v7
	v_cmp_ne_u32_e32 vcc, 0, v7
	v_and_or_b32 v9, v10, s16, v9
	v_lshrrev_b32_e32 v11, 8, v8
	v_bfe_u32 v12, v8, 20, 11
	v_cndmask_b32_e64 v7, 0, 1, vcc
	v_cmp_ne_u32_e32 vcc, 0, v9
	v_lshrrev_b32_e32 v13, 8, v10
	v_bfe_u32 v14, v10, 20, 11
	v_sub_u32_e32 v15, 0x3f1, v12
	v_cndmask_b32_e64 v9, 0, 1, vcc
	v_and_or_b32 v7, v11, s10, v7
	v_sub_u32_e32 v16, 0x3f1, v14
	v_med3_i32 v11, v15, 0, 13
	v_and_or_b32 v9, v13, s10, v9
	v_or_b32_e32 v15, 0x1000, v7
	v_add_u32_e32 v12, 0xfffffc10, v12
	v_med3_i32 v13, v16, 0, 13
	v_cmp_ne_u32_e32 vcc, 0, v7
	v_or_b32_e32 v17, 0x1000, v9
	v_lshrrev_b32_e32 v19, v11, v15
	v_add_u32_e32 v14, 0xfffffc10, v14
	v_lshl_or_b32 v16, v12, 12, v7
	v_cndmask_b32_e64 v7, 0, 1, vcc
	v_cmp_ne_u32_e32 vcc, 0, v9
	v_lshrrev_b32_e32 v20, v13, v17
	v_lshlrev_b32_e32 v11, v11, v19
	v_lshl_or_b32 v18, v14, 12, v9
	v_cndmask_b32_e64 v9, 0, 1, vcc
	v_lshlrev_b32_e32 v13, v13, v20
	v_cmp_ne_u32_e32 vcc, v11, v15
	v_cndmask_b32_e64 v11, 0, 1, vcc
	v_cmp_ne_u32_e32 vcc, v13, v17
	v_cndmask_b32_e64 v13, 0, 1, vcc
	v_or_b32_e32 v11, v19, v11
	v_cmp_gt_i32_e32 vcc, 1, v12
	v_cndmask_b32_e32 v11, v16, v11, vcc
	v_or_b32_e32 v13, v20, v13
	v_cmp_gt_i32_e32 vcc, 1, v14
	v_and_b32_e32 v15, 7, v11
	v_cndmask_b32_e32 v13, v18, v13, vcc
	v_cmp_lt_i32_e32 vcc, 5, v15
	v_cmp_eq_u32_e64 s[0:1], 3, v15
	v_lshrrev_b32_e32 v11, 2, v11
	v_and_b32_e32 v16, 7, v13
	s_or_b64 vcc, s[0:1], vcc
	v_cmp_lt_i32_e64 s[2:3], 5, v16
	v_cmp_eq_u32_e64 s[4:5], 3, v16
	v_addc_co_u32_e32 v11, vcc, 0, v11, vcc
	v_lshrrev_b32_e32 v13, 2, v13
	s_or_b64 vcc, s[4:5], s[2:3]
	v_addc_co_u32_e32 v13, vcc, 0, v13, vcc
	v_cmp_gt_i32_e32 vcc, 31, v12
	v_cndmask_b32_e32 v11, v0, v11, vcc
	v_cmp_gt_i32_e32 vcc, 31, v14
	v_lshl_or_b32 v7, v7, 9, v0
	v_cndmask_b32_e32 v13, v0, v13, vcc
	v_cmp_eq_u32_e32 vcc, s18, v12
	v_lshrrev_b32_e32 v8, 16, v8
	v_lshl_or_b32 v9, v9, 9, v0
	v_cndmask_b32_e32 v7, v11, v7, vcc
	v_cmp_eq_u32_e32 vcc, s18, v14
	v_lshrrev_b32_e32 v10, 16, v10
	v_cndmask_b32_e32 v9, v13, v9, vcc
	v_and_or_b32 v7, v8, s17, v7
	v_and_or_b32 v8, v10, s17, v9
	v_and_b32_e32 v7, 0xffff, v7
	v_lshl_or_b32 v7, v8, 16, v7
	global_store_dword v[5:6], v7, off
	global_load_dword v9, v28, s[6:7] offset:88
	ds_read2_b32 v[7:8], v30 offset0:22 offset1:44
	s_mul_i32 s0, s9, 0x58
	s_add_i32 s12, s12, s0
	v_add_co_u32_e32 v5, vcc, s11, v5
	s_waitcnt lgkmcnt(0)
	v_lshrrev_b32_e32 v10, 16, v7
	s_waitcnt vmcnt(0)
	v_mul_f16_sdwa v11, v10, v9 dst_sel:DWORD dst_unused:UNUSED_PAD src0_sel:DWORD src1_sel:WORD_1
	v_fma_f16 v11, v7, v9, v11
	v_mul_f16_sdwa v7, v7, v9 dst_sel:DWORD dst_unused:UNUSED_PAD src0_sel:DWORD src1_sel:WORD_1
	v_cvt_f32_f16_e32 v11, v11
	v_fma_f16 v7, v9, v10, -v7
	v_cvt_f32_f16_e32 v7, v7
	v_cvt_f64_f32_e32 v[9:10], v11
	v_cvt_f64_f32_e32 v[11:12], v7
	v_mov_b32_e32 v7, s12
	v_mul_f64 v[9:10], v[9:10], s[14:15]
	v_addc_co_u32_e32 v6, vcc, v6, v7, vcc
	v_mul_f64 v[11:12], v[11:12], s[14:15]
	v_and_or_b32 v7, v10, s16, v9
	v_cmp_ne_u32_e32 vcc, 0, v7
	v_lshrrev_b32_e32 v9, 8, v10
	v_and_or_b32 v11, v12, s16, v11
	v_bfe_u32 v13, v10, 20, 11
	v_cndmask_b32_e64 v7, 0, 1, vcc
	v_cmp_ne_u32_e32 vcc, 0, v11
	v_lshrrev_b32_e32 v14, 8, v12
	v_bfe_u32 v15, v12, 20, 11
	v_sub_u32_e32 v16, 0x3f1, v13
	v_cndmask_b32_e64 v11, 0, 1, vcc
	v_and_or_b32 v7, v9, s10, v7
	v_sub_u32_e32 v17, 0x3f1, v15
	v_med3_i32 v9, v16, 0, 13
	v_and_or_b32 v11, v14, s10, v11
	v_or_b32_e32 v16, 0x1000, v7
	v_add_u32_e32 v13, 0xfffffc10, v13
	v_med3_i32 v14, v17, 0, 13
	v_cmp_ne_u32_e32 vcc, 0, v7
	v_or_b32_e32 v18, 0x1000, v11
	v_lshrrev_b32_e32 v20, v9, v16
	v_add_u32_e32 v15, 0xfffffc10, v15
	v_lshl_or_b32 v17, v13, 12, v7
	v_cndmask_b32_e64 v7, 0, 1, vcc
	v_cmp_ne_u32_e32 vcc, 0, v11
	v_lshrrev_b32_e32 v21, v14, v18
	v_lshlrev_b32_e32 v9, v9, v20
	v_lshl_or_b32 v19, v15, 12, v11
	v_cndmask_b32_e64 v11, 0, 1, vcc
	v_lshlrev_b32_e32 v14, v14, v21
	v_cmp_ne_u32_e32 vcc, v9, v16
	v_cndmask_b32_e64 v9, 0, 1, vcc
	v_cmp_ne_u32_e32 vcc, v14, v18
	v_cndmask_b32_e64 v14, 0, 1, vcc
	v_or_b32_e32 v9, v20, v9
	v_cmp_gt_i32_e32 vcc, 1, v13
	v_cndmask_b32_e32 v9, v17, v9, vcc
	v_or_b32_e32 v14, v21, v14
	v_cmp_gt_i32_e32 vcc, 1, v15
	v_and_b32_e32 v16, 7, v9
	v_cndmask_b32_e32 v14, v19, v14, vcc
	v_cmp_lt_i32_e32 vcc, 5, v16
	v_cmp_eq_u32_e64 s[0:1], 3, v16
	v_lshrrev_b32_e32 v9, 2, v9
	v_and_b32_e32 v17, 7, v14
	s_or_b64 vcc, s[0:1], vcc
	v_cmp_lt_i32_e64 s[2:3], 5, v17
	v_cmp_eq_u32_e64 s[4:5], 3, v17
	v_addc_co_u32_e32 v9, vcc, 0, v9, vcc
	v_lshrrev_b32_e32 v14, 2, v14
	s_or_b64 vcc, s[4:5], s[2:3]
	v_addc_co_u32_e32 v14, vcc, 0, v14, vcc
	v_cmp_gt_i32_e32 vcc, 31, v13
	v_cndmask_b32_e32 v9, v0, v9, vcc
	v_cmp_gt_i32_e32 vcc, 31, v15
	v_lshl_or_b32 v7, v7, 9, v0
	v_cndmask_b32_e32 v14, v0, v14, vcc
	v_cmp_eq_u32_e32 vcc, s18, v13
	v_lshrrev_b32_e32 v10, 16, v10
	v_lshl_or_b32 v11, v11, 9, v0
	v_cndmask_b32_e32 v7, v9, v7, vcc
	v_cmp_eq_u32_e32 vcc, s18, v15
	v_lshrrev_b32_e32 v12, 16, v12
	v_cndmask_b32_e32 v9, v14, v11, vcc
	v_and_or_b32 v7, v10, s17, v7
	v_and_or_b32 v9, v12, s17, v9
	v_and_b32_e32 v7, 0xffff, v7
	v_lshl_or_b32 v7, v9, 16, v7
	global_store_dword v[5:6], v7, off
	global_load_dword v7, v28, s[6:7] offset:176
	v_lshrrev_b32_e32 v9, 16, v8
	v_mov_b32_e32 v11, s12
	v_add_co_u32_e32 v5, vcc, s11, v5
	v_addc_co_u32_e32 v6, vcc, v6, v11, vcc
	s_waitcnt vmcnt(0)
	v_mul_f16_sdwa v10, v9, v7 dst_sel:DWORD dst_unused:UNUSED_PAD src0_sel:DWORD src1_sel:WORD_1
	v_fma_f16 v10, v8, v7, v10
	v_mul_f16_sdwa v8, v8, v7 dst_sel:DWORD dst_unused:UNUSED_PAD src0_sel:DWORD src1_sel:WORD_1
	v_cvt_f32_f16_e32 v10, v10
	v_fma_f16 v7, v7, v9, -v8
	v_cvt_f32_f16_e32 v9, v7
	v_cvt_f64_f32_e32 v[7:8], v10
	v_cvt_f64_f32_e32 v[9:10], v9
	v_mul_f64 v[7:8], v[7:8], s[14:15]
	v_mul_f64 v[9:10], v[9:10], s[14:15]
	v_and_or_b32 v7, v8, s16, v7
	v_cmp_ne_u32_e32 vcc, 0, v7
	v_and_or_b32 v9, v10, s16, v9
	v_lshrrev_b32_e32 v11, 8, v8
	v_bfe_u32 v12, v8, 20, 11
	v_cndmask_b32_e64 v7, 0, 1, vcc
	v_cmp_ne_u32_e32 vcc, 0, v9
	v_lshrrev_b32_e32 v13, 8, v10
	v_bfe_u32 v14, v10, 20, 11
	v_sub_u32_e32 v15, 0x3f1, v12
	v_cndmask_b32_e64 v9, 0, 1, vcc
	v_and_or_b32 v7, v11, s10, v7
	v_sub_u32_e32 v16, 0x3f1, v14
	v_med3_i32 v11, v15, 0, 13
	v_and_or_b32 v9, v13, s10, v9
	v_or_b32_e32 v15, 0x1000, v7
	v_add_u32_e32 v12, 0xfffffc10, v12
	v_med3_i32 v13, v16, 0, 13
	v_cmp_ne_u32_e32 vcc, 0, v7
	v_or_b32_e32 v17, 0x1000, v9
	v_lshrrev_b32_e32 v19, v11, v15
	v_add_u32_e32 v14, 0xfffffc10, v14
	v_lshl_or_b32 v16, v12, 12, v7
	v_cndmask_b32_e64 v7, 0, 1, vcc
	v_cmp_ne_u32_e32 vcc, 0, v9
	v_lshrrev_b32_e32 v20, v13, v17
	v_lshlrev_b32_e32 v11, v11, v19
	v_lshl_or_b32 v18, v14, 12, v9
	v_cndmask_b32_e64 v9, 0, 1, vcc
	v_lshlrev_b32_e32 v13, v13, v20
	v_cmp_ne_u32_e32 vcc, v11, v15
	v_cndmask_b32_e64 v11, 0, 1, vcc
	v_cmp_ne_u32_e32 vcc, v13, v17
	v_cndmask_b32_e64 v13, 0, 1, vcc
	v_or_b32_e32 v11, v19, v11
	v_cmp_gt_i32_e32 vcc, 1, v12
	v_cndmask_b32_e32 v11, v16, v11, vcc
	v_or_b32_e32 v13, v20, v13
	v_cmp_gt_i32_e32 vcc, 1, v14
	v_and_b32_e32 v15, 7, v11
	v_cndmask_b32_e32 v13, v18, v13, vcc
	v_cmp_lt_i32_e32 vcc, 5, v15
	v_cmp_eq_u32_e64 s[0:1], 3, v15
	v_lshrrev_b32_e32 v11, 2, v11
	v_and_b32_e32 v16, 7, v13
	s_or_b64 vcc, s[0:1], vcc
	v_cmp_lt_i32_e64 s[2:3], 5, v16
	v_cmp_eq_u32_e64 s[4:5], 3, v16
	v_addc_co_u32_e32 v11, vcc, 0, v11, vcc
	v_lshrrev_b32_e32 v13, 2, v13
	s_or_b64 vcc, s[4:5], s[2:3]
	v_addc_co_u32_e32 v13, vcc, 0, v13, vcc
	v_cmp_gt_i32_e32 vcc, 31, v12
	v_cndmask_b32_e32 v11, v0, v11, vcc
	v_cmp_gt_i32_e32 vcc, 31, v14
	v_lshl_or_b32 v7, v7, 9, v0
	v_cndmask_b32_e32 v13, v0, v13, vcc
	v_cmp_eq_u32_e32 vcc, s18, v12
	v_lshrrev_b32_e32 v8, 16, v8
	v_lshl_or_b32 v9, v9, 9, v0
	v_cndmask_b32_e32 v7, v11, v7, vcc
	v_cmp_eq_u32_e32 vcc, s18, v14
	v_lshrrev_b32_e32 v10, 16, v10
	v_cndmask_b32_e32 v9, v13, v9, vcc
	v_and_or_b32 v7, v8, s17, v7
	v_and_or_b32 v8, v10, s17, v9
	v_and_b32_e32 v7, 0xffff, v7
	v_lshl_or_b32 v7, v8, 16, v7
	global_store_dword v[5:6], v7, off
	global_load_dword v9, v28, s[6:7] offset:264
	ds_read2_b32 v[7:8], v30 offset0:66 offset1:88
	v_add_co_u32_e32 v5, vcc, s11, v5
	s_waitcnt lgkmcnt(0)
	v_lshrrev_b32_e32 v10, 16, v7
	s_waitcnt vmcnt(0)
	v_mul_f16_sdwa v11, v10, v9 dst_sel:DWORD dst_unused:UNUSED_PAD src0_sel:DWORD src1_sel:WORD_1
	v_fma_f16 v11, v7, v9, v11
	v_mul_f16_sdwa v7, v7, v9 dst_sel:DWORD dst_unused:UNUSED_PAD src0_sel:DWORD src1_sel:WORD_1
	v_cvt_f32_f16_e32 v11, v11
	v_fma_f16 v7, v9, v10, -v7
	v_cvt_f32_f16_e32 v7, v7
	v_cvt_f64_f32_e32 v[9:10], v11
	v_cvt_f64_f32_e32 v[11:12], v7
	v_mov_b32_e32 v7, s12
	v_mul_f64 v[9:10], v[9:10], s[14:15]
	v_addc_co_u32_e32 v6, vcc, v6, v7, vcc
	v_mul_f64 v[11:12], v[11:12], s[14:15]
	v_and_or_b32 v7, v10, s16, v9
	v_cmp_ne_u32_e32 vcc, 0, v7
	v_lshrrev_b32_e32 v9, 8, v10
	v_and_or_b32 v11, v12, s16, v11
	v_bfe_u32 v13, v10, 20, 11
	v_cndmask_b32_e64 v7, 0, 1, vcc
	v_cmp_ne_u32_e32 vcc, 0, v11
	v_lshrrev_b32_e32 v14, 8, v12
	v_bfe_u32 v15, v12, 20, 11
	v_sub_u32_e32 v16, 0x3f1, v13
	v_cndmask_b32_e64 v11, 0, 1, vcc
	v_and_or_b32 v7, v9, s10, v7
	v_sub_u32_e32 v17, 0x3f1, v15
	v_med3_i32 v9, v16, 0, 13
	v_and_or_b32 v11, v14, s10, v11
	v_or_b32_e32 v16, 0x1000, v7
	v_add_u32_e32 v13, 0xfffffc10, v13
	v_med3_i32 v14, v17, 0, 13
	v_cmp_ne_u32_e32 vcc, 0, v7
	v_or_b32_e32 v18, 0x1000, v11
	v_lshrrev_b32_e32 v20, v9, v16
	v_add_u32_e32 v15, 0xfffffc10, v15
	v_lshl_or_b32 v17, v13, 12, v7
	v_cndmask_b32_e64 v7, 0, 1, vcc
	v_cmp_ne_u32_e32 vcc, 0, v11
	v_lshrrev_b32_e32 v21, v14, v18
	v_lshlrev_b32_e32 v9, v9, v20
	v_lshl_or_b32 v19, v15, 12, v11
	v_cndmask_b32_e64 v11, 0, 1, vcc
	v_lshlrev_b32_e32 v14, v14, v21
	v_cmp_ne_u32_e32 vcc, v9, v16
	v_cndmask_b32_e64 v9, 0, 1, vcc
	v_cmp_ne_u32_e32 vcc, v14, v18
	v_cndmask_b32_e64 v14, 0, 1, vcc
	v_or_b32_e32 v9, v20, v9
	v_cmp_gt_i32_e32 vcc, 1, v13
	v_cndmask_b32_e32 v9, v17, v9, vcc
	v_or_b32_e32 v14, v21, v14
	v_cmp_gt_i32_e32 vcc, 1, v15
	v_and_b32_e32 v16, 7, v9
	v_cndmask_b32_e32 v14, v19, v14, vcc
	v_cmp_lt_i32_e32 vcc, 5, v16
	v_cmp_eq_u32_e64 s[0:1], 3, v16
	v_lshrrev_b32_e32 v9, 2, v9
	v_and_b32_e32 v17, 7, v14
	s_or_b64 vcc, s[0:1], vcc
	v_cmp_lt_i32_e64 s[2:3], 5, v17
	v_cmp_eq_u32_e64 s[4:5], 3, v17
	v_addc_co_u32_e32 v9, vcc, 0, v9, vcc
	v_lshrrev_b32_e32 v14, 2, v14
	s_or_b64 vcc, s[4:5], s[2:3]
	v_addc_co_u32_e32 v14, vcc, 0, v14, vcc
	v_cmp_gt_i32_e32 vcc, 31, v13
	v_cndmask_b32_e32 v9, v0, v9, vcc
	v_cmp_gt_i32_e32 vcc, 31, v15
	v_lshl_or_b32 v7, v7, 9, v0
	v_cndmask_b32_e32 v14, v0, v14, vcc
	v_cmp_eq_u32_e32 vcc, s18, v13
	v_lshrrev_b32_e32 v10, 16, v10
	v_lshl_or_b32 v11, v11, 9, v0
	v_cndmask_b32_e32 v7, v9, v7, vcc
	v_cmp_eq_u32_e32 vcc, s18, v15
	v_lshrrev_b32_e32 v12, 16, v12
	v_cndmask_b32_e32 v9, v14, v11, vcc
	v_and_or_b32 v7, v10, s17, v7
	v_and_or_b32 v9, v12, s17, v9
	v_and_b32_e32 v7, 0xffff, v7
	v_lshl_or_b32 v7, v9, 16, v7
	global_store_dword v[5:6], v7, off
	global_load_dword v7, v28, s[6:7] offset:352
	v_lshrrev_b32_e32 v9, 16, v8
	v_mov_b32_e32 v11, s12
	v_add_co_u32_e32 v5, vcc, s11, v5
	v_addc_co_u32_e32 v6, vcc, v6, v11, vcc
	s_waitcnt vmcnt(0)
	v_mul_f16_sdwa v10, v9, v7 dst_sel:DWORD dst_unused:UNUSED_PAD src0_sel:DWORD src1_sel:WORD_1
	v_fma_f16 v10, v8, v7, v10
	v_mul_f16_sdwa v8, v8, v7 dst_sel:DWORD dst_unused:UNUSED_PAD src0_sel:DWORD src1_sel:WORD_1
	v_cvt_f32_f16_e32 v10, v10
	v_fma_f16 v7, v7, v9, -v8
	v_cvt_f32_f16_e32 v9, v7
	v_cvt_f64_f32_e32 v[7:8], v10
	v_cvt_f64_f32_e32 v[9:10], v9
	v_mul_f64 v[7:8], v[7:8], s[14:15]
	v_mul_f64 v[9:10], v[9:10], s[14:15]
	v_and_or_b32 v7, v8, s16, v7
	v_cmp_ne_u32_e32 vcc, 0, v7
	v_and_or_b32 v9, v10, s16, v9
	v_lshrrev_b32_e32 v11, 8, v8
	v_bfe_u32 v12, v8, 20, 11
	v_cndmask_b32_e64 v7, 0, 1, vcc
	v_cmp_ne_u32_e32 vcc, 0, v9
	v_lshrrev_b32_e32 v13, 8, v10
	v_bfe_u32 v14, v10, 20, 11
	v_sub_u32_e32 v15, 0x3f1, v12
	v_cndmask_b32_e64 v9, 0, 1, vcc
	v_and_or_b32 v7, v11, s10, v7
	v_sub_u32_e32 v16, 0x3f1, v14
	v_med3_i32 v11, v15, 0, 13
	v_and_or_b32 v9, v13, s10, v9
	v_or_b32_e32 v15, 0x1000, v7
	v_add_u32_e32 v12, 0xfffffc10, v12
	v_med3_i32 v13, v16, 0, 13
	v_cmp_ne_u32_e32 vcc, 0, v7
	v_or_b32_e32 v17, 0x1000, v9
	v_lshrrev_b32_e32 v19, v11, v15
	v_add_u32_e32 v14, 0xfffffc10, v14
	v_lshl_or_b32 v16, v12, 12, v7
	v_cndmask_b32_e64 v7, 0, 1, vcc
	v_cmp_ne_u32_e32 vcc, 0, v9
	v_lshrrev_b32_e32 v20, v13, v17
	v_lshlrev_b32_e32 v11, v11, v19
	v_lshl_or_b32 v18, v14, 12, v9
	v_cndmask_b32_e64 v9, 0, 1, vcc
	v_lshlrev_b32_e32 v13, v13, v20
	v_cmp_ne_u32_e32 vcc, v11, v15
	v_cndmask_b32_e64 v11, 0, 1, vcc
	v_cmp_ne_u32_e32 vcc, v13, v17
	v_cndmask_b32_e64 v13, 0, 1, vcc
	v_or_b32_e32 v11, v19, v11
	v_cmp_gt_i32_e32 vcc, 1, v12
	v_cndmask_b32_e32 v11, v16, v11, vcc
	v_or_b32_e32 v13, v20, v13
	v_cmp_gt_i32_e32 vcc, 1, v14
	v_and_b32_e32 v15, 7, v11
	v_cndmask_b32_e32 v13, v18, v13, vcc
	v_cmp_lt_i32_e32 vcc, 5, v15
	v_cmp_eq_u32_e64 s[0:1], 3, v15
	v_lshrrev_b32_e32 v11, 2, v11
	v_and_b32_e32 v16, 7, v13
	s_or_b64 vcc, s[0:1], vcc
	v_cmp_lt_i32_e64 s[2:3], 5, v16
	v_cmp_eq_u32_e64 s[4:5], 3, v16
	v_addc_co_u32_e32 v11, vcc, 0, v11, vcc
	v_lshrrev_b32_e32 v13, 2, v13
	s_or_b64 vcc, s[4:5], s[2:3]
	v_addc_co_u32_e32 v13, vcc, 0, v13, vcc
	v_cmp_gt_i32_e32 vcc, 31, v12
	v_cndmask_b32_e32 v11, v0, v11, vcc
	v_cmp_gt_i32_e32 vcc, 31, v14
	v_lshl_or_b32 v7, v7, 9, v0
	v_cndmask_b32_e32 v13, v0, v13, vcc
	v_cmp_eq_u32_e32 vcc, s18, v12
	v_lshrrev_b32_e32 v8, 16, v8
	v_lshl_or_b32 v9, v9, 9, v0
	v_cndmask_b32_e32 v7, v11, v7, vcc
	v_cmp_eq_u32_e32 vcc, s18, v14
	v_lshrrev_b32_e32 v10, 16, v10
	v_cndmask_b32_e32 v9, v13, v9, vcc
	v_and_or_b32 v7, v8, s17, v7
	v_and_or_b32 v8, v10, s17, v9
	v_and_b32_e32 v7, 0xffff, v7
	v_lshl_or_b32 v7, v8, 16, v7
	global_store_dword v[5:6], v7, off
	global_load_dword v9, v28, s[6:7] offset:440
	ds_read2_b32 v[7:8], v30 offset0:110 offset1:132
	v_add_co_u32_e32 v5, vcc, s11, v5
	s_waitcnt lgkmcnt(0)
	v_lshrrev_b32_e32 v10, 16, v7
	s_waitcnt vmcnt(0)
	v_mul_f16_sdwa v11, v10, v9 dst_sel:DWORD dst_unused:UNUSED_PAD src0_sel:DWORD src1_sel:WORD_1
	v_fma_f16 v11, v7, v9, v11
	v_mul_f16_sdwa v7, v7, v9 dst_sel:DWORD dst_unused:UNUSED_PAD src0_sel:DWORD src1_sel:WORD_1
	v_cvt_f32_f16_e32 v11, v11
	v_fma_f16 v7, v9, v10, -v7
	v_cvt_f32_f16_e32 v7, v7
	v_cvt_f64_f32_e32 v[9:10], v11
	v_cvt_f64_f32_e32 v[11:12], v7
	v_mov_b32_e32 v7, s12
	v_mul_f64 v[9:10], v[9:10], s[14:15]
	v_addc_co_u32_e32 v6, vcc, v6, v7, vcc
	v_mul_f64 v[11:12], v[11:12], s[14:15]
	v_and_or_b32 v7, v10, s16, v9
	v_cmp_ne_u32_e32 vcc, 0, v7
	v_lshrrev_b32_e32 v9, 8, v10
	v_and_or_b32 v11, v12, s16, v11
	v_bfe_u32 v13, v10, 20, 11
	v_cndmask_b32_e64 v7, 0, 1, vcc
	v_cmp_ne_u32_e32 vcc, 0, v11
	v_lshrrev_b32_e32 v14, 8, v12
	v_bfe_u32 v15, v12, 20, 11
	v_sub_u32_e32 v16, 0x3f1, v13
	v_cndmask_b32_e64 v11, 0, 1, vcc
	v_and_or_b32 v7, v9, s10, v7
	v_sub_u32_e32 v17, 0x3f1, v15
	v_med3_i32 v9, v16, 0, 13
	v_and_or_b32 v11, v14, s10, v11
	v_or_b32_e32 v16, 0x1000, v7
	v_add_u32_e32 v13, 0xfffffc10, v13
	v_med3_i32 v14, v17, 0, 13
	v_cmp_ne_u32_e32 vcc, 0, v7
	v_or_b32_e32 v18, 0x1000, v11
	v_lshrrev_b32_e32 v20, v9, v16
	v_add_u32_e32 v15, 0xfffffc10, v15
	v_lshl_or_b32 v17, v13, 12, v7
	v_cndmask_b32_e64 v7, 0, 1, vcc
	v_cmp_ne_u32_e32 vcc, 0, v11
	v_lshrrev_b32_e32 v21, v14, v18
	v_lshlrev_b32_e32 v9, v9, v20
	v_lshl_or_b32 v19, v15, 12, v11
	v_cndmask_b32_e64 v11, 0, 1, vcc
	v_lshlrev_b32_e32 v14, v14, v21
	v_cmp_ne_u32_e32 vcc, v9, v16
	v_cndmask_b32_e64 v9, 0, 1, vcc
	v_cmp_ne_u32_e32 vcc, v14, v18
	v_cndmask_b32_e64 v14, 0, 1, vcc
	v_or_b32_e32 v9, v20, v9
	v_cmp_gt_i32_e32 vcc, 1, v13
	v_cndmask_b32_e32 v9, v17, v9, vcc
	v_or_b32_e32 v14, v21, v14
	v_cmp_gt_i32_e32 vcc, 1, v15
	v_and_b32_e32 v16, 7, v9
	v_cndmask_b32_e32 v14, v19, v14, vcc
	v_cmp_lt_i32_e32 vcc, 5, v16
	v_cmp_eq_u32_e64 s[0:1], 3, v16
	v_lshrrev_b32_e32 v9, 2, v9
	v_and_b32_e32 v17, 7, v14
	s_or_b64 vcc, s[0:1], vcc
	v_cmp_lt_i32_e64 s[2:3], 5, v17
	v_cmp_eq_u32_e64 s[4:5], 3, v17
	v_addc_co_u32_e32 v9, vcc, 0, v9, vcc
	v_lshrrev_b32_e32 v14, 2, v14
	s_or_b64 vcc, s[4:5], s[2:3]
	v_addc_co_u32_e32 v14, vcc, 0, v14, vcc
	v_cmp_gt_i32_e32 vcc, 31, v13
	v_cndmask_b32_e32 v9, v0, v9, vcc
	v_cmp_gt_i32_e32 vcc, 31, v15
	v_lshl_or_b32 v7, v7, 9, v0
	v_cndmask_b32_e32 v14, v0, v14, vcc
	v_cmp_eq_u32_e32 vcc, s18, v13
	v_lshrrev_b32_e32 v10, 16, v10
	v_lshl_or_b32 v11, v11, 9, v0
	v_cndmask_b32_e32 v7, v9, v7, vcc
	v_cmp_eq_u32_e32 vcc, s18, v15
	v_lshrrev_b32_e32 v12, 16, v12
	v_cndmask_b32_e32 v9, v14, v11, vcc
	v_and_or_b32 v7, v10, s17, v7
	v_and_or_b32 v9, v12, s17, v9
	v_and_b32_e32 v7, 0xffff, v7
	v_lshl_or_b32 v7, v9, 16, v7
	global_store_dword v[5:6], v7, off
	global_load_dword v7, v28, s[6:7] offset:528
	v_lshrrev_b32_e32 v9, 16, v8
	v_mov_b32_e32 v11, s12
	v_add_co_u32_e32 v5, vcc, s11, v5
	v_addc_co_u32_e32 v6, vcc, v6, v11, vcc
	s_waitcnt vmcnt(0)
	v_mul_f16_sdwa v10, v9, v7 dst_sel:DWORD dst_unused:UNUSED_PAD src0_sel:DWORD src1_sel:WORD_1
	v_fma_f16 v10, v8, v7, v10
	v_mul_f16_sdwa v8, v8, v7 dst_sel:DWORD dst_unused:UNUSED_PAD src0_sel:DWORD src1_sel:WORD_1
	v_cvt_f32_f16_e32 v10, v10
	v_fma_f16 v7, v7, v9, -v8
	v_cvt_f32_f16_e32 v9, v7
	v_cvt_f64_f32_e32 v[7:8], v10
	v_cvt_f64_f32_e32 v[9:10], v9
	v_mul_f64 v[7:8], v[7:8], s[14:15]
	v_mul_f64 v[9:10], v[9:10], s[14:15]
	v_and_or_b32 v7, v8, s16, v7
	v_cmp_ne_u32_e32 vcc, 0, v7
	v_and_or_b32 v9, v10, s16, v9
	v_lshrrev_b32_e32 v11, 8, v8
	v_bfe_u32 v12, v8, 20, 11
	v_cndmask_b32_e64 v7, 0, 1, vcc
	v_cmp_ne_u32_e32 vcc, 0, v9
	v_lshrrev_b32_e32 v13, 8, v10
	v_bfe_u32 v14, v10, 20, 11
	v_sub_u32_e32 v15, 0x3f1, v12
	v_cndmask_b32_e64 v9, 0, 1, vcc
	v_and_or_b32 v7, v11, s10, v7
	v_sub_u32_e32 v16, 0x3f1, v14
	v_med3_i32 v11, v15, 0, 13
	v_and_or_b32 v9, v13, s10, v9
	v_or_b32_e32 v15, 0x1000, v7
	v_add_u32_e32 v12, 0xfffffc10, v12
	v_med3_i32 v13, v16, 0, 13
	v_cmp_ne_u32_e32 vcc, 0, v7
	v_or_b32_e32 v17, 0x1000, v9
	v_lshrrev_b32_e32 v19, v11, v15
	v_add_u32_e32 v14, 0xfffffc10, v14
	v_lshl_or_b32 v16, v12, 12, v7
	v_cndmask_b32_e64 v7, 0, 1, vcc
	v_cmp_ne_u32_e32 vcc, 0, v9
	v_lshrrev_b32_e32 v20, v13, v17
	v_lshlrev_b32_e32 v11, v11, v19
	v_lshl_or_b32 v18, v14, 12, v9
	v_cndmask_b32_e64 v9, 0, 1, vcc
	v_lshlrev_b32_e32 v13, v13, v20
	v_cmp_ne_u32_e32 vcc, v11, v15
	v_cndmask_b32_e64 v11, 0, 1, vcc
	v_cmp_ne_u32_e32 vcc, v13, v17
	v_cndmask_b32_e64 v13, 0, 1, vcc
	v_or_b32_e32 v11, v19, v11
	v_cmp_gt_i32_e32 vcc, 1, v12
	v_cndmask_b32_e32 v11, v16, v11, vcc
	v_or_b32_e32 v13, v20, v13
	v_cmp_gt_i32_e32 vcc, 1, v14
	v_and_b32_e32 v15, 7, v11
	v_cndmask_b32_e32 v13, v18, v13, vcc
	v_cmp_lt_i32_e32 vcc, 5, v15
	v_cmp_eq_u32_e64 s[0:1], 3, v15
	v_lshrrev_b32_e32 v11, 2, v11
	v_and_b32_e32 v16, 7, v13
	s_or_b64 vcc, s[0:1], vcc
	v_cmp_lt_i32_e64 s[2:3], 5, v16
	v_cmp_eq_u32_e64 s[4:5], 3, v16
	v_addc_co_u32_e32 v11, vcc, 0, v11, vcc
	v_lshrrev_b32_e32 v13, 2, v13
	s_or_b64 vcc, s[4:5], s[2:3]
	v_addc_co_u32_e32 v13, vcc, 0, v13, vcc
	v_cmp_gt_i32_e32 vcc, 31, v12
	v_cndmask_b32_e32 v11, v0, v11, vcc
	v_cmp_gt_i32_e32 vcc, 31, v14
	v_lshl_or_b32 v7, v7, 9, v0
	v_cndmask_b32_e32 v13, v0, v13, vcc
	v_cmp_eq_u32_e32 vcc, s18, v12
	v_lshrrev_b32_e32 v8, 16, v8
	v_lshl_or_b32 v9, v9, 9, v0
	v_cndmask_b32_e32 v7, v11, v7, vcc
	v_cmp_eq_u32_e32 vcc, s18, v14
	v_lshrrev_b32_e32 v10, 16, v10
	v_cndmask_b32_e32 v9, v13, v9, vcc
	v_and_or_b32 v7, v8, s17, v7
	v_and_or_b32 v8, v10, s17, v9
	v_and_b32_e32 v7, 0xffff, v7
	v_lshl_or_b32 v7, v8, 16, v7
	global_store_dword v[5:6], v7, off
	global_load_dword v9, v28, s[6:7] offset:616
	ds_read2_b32 v[7:8], v30 offset0:154 offset1:176
	v_add_co_u32_e32 v5, vcc, s11, v5
	s_waitcnt lgkmcnt(0)
	v_lshrrev_b32_e32 v10, 16, v7
	s_waitcnt vmcnt(0)
	v_mul_f16_sdwa v11, v10, v9 dst_sel:DWORD dst_unused:UNUSED_PAD src0_sel:DWORD src1_sel:WORD_1
	v_fma_f16 v11, v7, v9, v11
	v_mul_f16_sdwa v7, v7, v9 dst_sel:DWORD dst_unused:UNUSED_PAD src0_sel:DWORD src1_sel:WORD_1
	v_cvt_f32_f16_e32 v11, v11
	v_fma_f16 v7, v9, v10, -v7
	v_cvt_f32_f16_e32 v7, v7
	v_cvt_f64_f32_e32 v[9:10], v11
	v_cvt_f64_f32_e32 v[11:12], v7
	v_mov_b32_e32 v7, s12
	v_mul_f64 v[9:10], v[9:10], s[14:15]
	v_addc_co_u32_e32 v6, vcc, v6, v7, vcc
	v_mul_f64 v[11:12], v[11:12], s[14:15]
	v_and_or_b32 v7, v10, s16, v9
	v_cmp_ne_u32_e32 vcc, 0, v7
	v_lshrrev_b32_e32 v9, 8, v10
	v_and_or_b32 v11, v12, s16, v11
	v_bfe_u32 v13, v10, 20, 11
	v_cndmask_b32_e64 v7, 0, 1, vcc
	v_cmp_ne_u32_e32 vcc, 0, v11
	v_lshrrev_b32_e32 v14, 8, v12
	v_bfe_u32 v15, v12, 20, 11
	v_sub_u32_e32 v16, 0x3f1, v13
	v_cndmask_b32_e64 v11, 0, 1, vcc
	v_and_or_b32 v7, v9, s10, v7
	v_sub_u32_e32 v17, 0x3f1, v15
	v_med3_i32 v9, v16, 0, 13
	v_and_or_b32 v11, v14, s10, v11
	v_or_b32_e32 v16, 0x1000, v7
	v_add_u32_e32 v13, 0xfffffc10, v13
	v_med3_i32 v14, v17, 0, 13
	v_cmp_ne_u32_e32 vcc, 0, v7
	v_or_b32_e32 v18, 0x1000, v11
	v_lshrrev_b32_e32 v20, v9, v16
	v_add_u32_e32 v15, 0xfffffc10, v15
	v_lshl_or_b32 v17, v13, 12, v7
	v_cndmask_b32_e64 v7, 0, 1, vcc
	v_cmp_ne_u32_e32 vcc, 0, v11
	v_lshrrev_b32_e32 v21, v14, v18
	v_lshlrev_b32_e32 v9, v9, v20
	v_lshl_or_b32 v19, v15, 12, v11
	v_cndmask_b32_e64 v11, 0, 1, vcc
	v_lshlrev_b32_e32 v14, v14, v21
	v_cmp_ne_u32_e32 vcc, v9, v16
	v_cndmask_b32_e64 v9, 0, 1, vcc
	v_cmp_ne_u32_e32 vcc, v14, v18
	v_cndmask_b32_e64 v14, 0, 1, vcc
	v_or_b32_e32 v9, v20, v9
	v_cmp_gt_i32_e32 vcc, 1, v13
	v_cndmask_b32_e32 v9, v17, v9, vcc
	v_or_b32_e32 v14, v21, v14
	v_cmp_gt_i32_e32 vcc, 1, v15
	v_and_b32_e32 v16, 7, v9
	v_cndmask_b32_e32 v14, v19, v14, vcc
	v_cmp_lt_i32_e32 vcc, 5, v16
	v_cmp_eq_u32_e64 s[0:1], 3, v16
	v_lshrrev_b32_e32 v9, 2, v9
	v_and_b32_e32 v17, 7, v14
	s_or_b64 vcc, s[0:1], vcc
	v_cmp_lt_i32_e64 s[2:3], 5, v17
	v_cmp_eq_u32_e64 s[4:5], 3, v17
	v_addc_co_u32_e32 v9, vcc, 0, v9, vcc
	v_lshrrev_b32_e32 v14, 2, v14
	s_or_b64 vcc, s[4:5], s[2:3]
	v_addc_co_u32_e32 v14, vcc, 0, v14, vcc
	v_cmp_gt_i32_e32 vcc, 31, v13
	v_cndmask_b32_e32 v9, v0, v9, vcc
	v_cmp_gt_i32_e32 vcc, 31, v15
	v_lshl_or_b32 v7, v7, 9, v0
	v_cndmask_b32_e32 v14, v0, v14, vcc
	v_cmp_eq_u32_e32 vcc, s18, v13
	v_lshrrev_b32_e32 v10, 16, v10
	v_lshl_or_b32 v11, v11, 9, v0
	v_cndmask_b32_e32 v7, v9, v7, vcc
	v_cmp_eq_u32_e32 vcc, s18, v15
	v_lshrrev_b32_e32 v12, 16, v12
	v_cndmask_b32_e32 v9, v14, v11, vcc
	v_and_or_b32 v7, v10, s17, v7
	v_and_or_b32 v9, v12, s17, v9
	v_and_b32_e32 v7, 0xffff, v7
	v_lshl_or_b32 v7, v9, 16, v7
	global_store_dword v[5:6], v7, off
	global_load_dword v7, v28, s[6:7] offset:704
	v_lshrrev_b32_e32 v9, 16, v8
	v_mov_b32_e32 v11, s12
	v_add_co_u32_e32 v5, vcc, s11, v5
	v_addc_co_u32_e32 v6, vcc, v6, v11, vcc
	s_waitcnt vmcnt(0)
	v_mul_f16_sdwa v10, v9, v7 dst_sel:DWORD dst_unused:UNUSED_PAD src0_sel:DWORD src1_sel:WORD_1
	v_fma_f16 v10, v8, v7, v10
	v_mul_f16_sdwa v8, v8, v7 dst_sel:DWORD dst_unused:UNUSED_PAD src0_sel:DWORD src1_sel:WORD_1
	v_cvt_f32_f16_e32 v10, v10
	v_fma_f16 v7, v7, v9, -v8
	v_cvt_f32_f16_e32 v9, v7
	v_cvt_f64_f32_e32 v[7:8], v10
	v_cvt_f64_f32_e32 v[9:10], v9
	v_mul_f64 v[7:8], v[7:8], s[14:15]
	v_mul_f64 v[9:10], v[9:10], s[14:15]
	v_and_or_b32 v7, v8, s16, v7
	v_cmp_ne_u32_e32 vcc, 0, v7
	v_and_or_b32 v9, v10, s16, v9
	v_lshrrev_b32_e32 v11, 8, v8
	v_bfe_u32 v12, v8, 20, 11
	v_cndmask_b32_e64 v7, 0, 1, vcc
	v_cmp_ne_u32_e32 vcc, 0, v9
	v_lshrrev_b32_e32 v13, 8, v10
	v_bfe_u32 v14, v10, 20, 11
	v_sub_u32_e32 v15, 0x3f1, v12
	v_cndmask_b32_e64 v9, 0, 1, vcc
	v_and_or_b32 v7, v11, s10, v7
	v_sub_u32_e32 v16, 0x3f1, v14
	v_med3_i32 v11, v15, 0, 13
	v_and_or_b32 v9, v13, s10, v9
	v_or_b32_e32 v15, 0x1000, v7
	v_add_u32_e32 v12, 0xfffffc10, v12
	v_med3_i32 v13, v16, 0, 13
	v_cmp_ne_u32_e32 vcc, 0, v7
	v_or_b32_e32 v17, 0x1000, v9
	v_lshrrev_b32_e32 v19, v11, v15
	v_add_u32_e32 v14, 0xfffffc10, v14
	v_lshl_or_b32 v16, v12, 12, v7
	v_cndmask_b32_e64 v7, 0, 1, vcc
	v_cmp_ne_u32_e32 vcc, 0, v9
	v_lshrrev_b32_e32 v20, v13, v17
	v_lshlrev_b32_e32 v11, v11, v19
	v_lshl_or_b32 v18, v14, 12, v9
	v_cndmask_b32_e64 v9, 0, 1, vcc
	v_lshlrev_b32_e32 v13, v13, v20
	v_cmp_ne_u32_e32 vcc, v11, v15
	v_cndmask_b32_e64 v11, 0, 1, vcc
	v_cmp_ne_u32_e32 vcc, v13, v17
	v_cndmask_b32_e64 v13, 0, 1, vcc
	v_or_b32_e32 v11, v19, v11
	v_cmp_gt_i32_e32 vcc, 1, v12
	v_cndmask_b32_e32 v11, v16, v11, vcc
	v_or_b32_e32 v13, v20, v13
	v_cmp_gt_i32_e32 vcc, 1, v14
	v_and_b32_e32 v15, 7, v11
	v_cndmask_b32_e32 v13, v18, v13, vcc
	v_cmp_lt_i32_e32 vcc, 5, v15
	v_cmp_eq_u32_e64 s[0:1], 3, v15
	v_lshrrev_b32_e32 v11, 2, v11
	v_and_b32_e32 v16, 7, v13
	s_or_b64 vcc, s[0:1], vcc
	v_cmp_lt_i32_e64 s[2:3], 5, v16
	v_cmp_eq_u32_e64 s[4:5], 3, v16
	v_addc_co_u32_e32 v11, vcc, 0, v11, vcc
	v_lshrrev_b32_e32 v13, 2, v13
	s_or_b64 vcc, s[4:5], s[2:3]
	v_addc_co_u32_e32 v13, vcc, 0, v13, vcc
	v_cmp_gt_i32_e32 vcc, 31, v12
	v_cndmask_b32_e32 v11, v0, v11, vcc
	v_cmp_gt_i32_e32 vcc, 31, v14
	v_lshl_or_b32 v7, v7, 9, v0
	v_cndmask_b32_e32 v13, v0, v13, vcc
	v_cmp_eq_u32_e32 vcc, s18, v12
	v_lshrrev_b32_e32 v8, 16, v8
	v_lshl_or_b32 v9, v9, 9, v0
	v_cndmask_b32_e32 v7, v11, v7, vcc
	v_cmp_eq_u32_e32 vcc, s18, v14
	v_lshrrev_b32_e32 v10, 16, v10
	v_cndmask_b32_e32 v9, v13, v9, vcc
	v_and_or_b32 v7, v8, s17, v7
	v_and_or_b32 v8, v10, s17, v9
	v_and_b32_e32 v7, 0xffff, v7
	v_lshl_or_b32 v7, v8, 16, v7
	global_store_dword v[5:6], v7, off
	global_load_dword v9, v28, s[6:7] offset:792
	ds_read2_b32 v[7:8], v30 offset0:198 offset1:220
	v_add_co_u32_e32 v5, vcc, s11, v5
	s_waitcnt lgkmcnt(0)
	v_lshrrev_b32_e32 v10, 16, v7
	s_waitcnt vmcnt(0)
	v_mul_f16_sdwa v11, v10, v9 dst_sel:DWORD dst_unused:UNUSED_PAD src0_sel:DWORD src1_sel:WORD_1
	v_fma_f16 v11, v7, v9, v11
	v_mul_f16_sdwa v7, v7, v9 dst_sel:DWORD dst_unused:UNUSED_PAD src0_sel:DWORD src1_sel:WORD_1
	v_cvt_f32_f16_e32 v11, v11
	v_fma_f16 v7, v9, v10, -v7
	v_cvt_f32_f16_e32 v7, v7
	v_cvt_f64_f32_e32 v[9:10], v11
	v_cvt_f64_f32_e32 v[11:12], v7
	v_mov_b32_e32 v7, s12
	v_mul_f64 v[9:10], v[9:10], s[14:15]
	v_addc_co_u32_e32 v6, vcc, v6, v7, vcc
	v_mul_f64 v[11:12], v[11:12], s[14:15]
	v_and_or_b32 v7, v10, s16, v9
	v_cmp_ne_u32_e32 vcc, 0, v7
	v_lshrrev_b32_e32 v9, 8, v10
	v_and_or_b32 v11, v12, s16, v11
	v_bfe_u32 v13, v10, 20, 11
	v_cndmask_b32_e64 v7, 0, 1, vcc
	v_cmp_ne_u32_e32 vcc, 0, v11
	v_lshrrev_b32_e32 v14, 8, v12
	v_bfe_u32 v15, v12, 20, 11
	v_sub_u32_e32 v16, 0x3f1, v13
	v_cndmask_b32_e64 v11, 0, 1, vcc
	v_and_or_b32 v7, v9, s10, v7
	v_sub_u32_e32 v17, 0x3f1, v15
	v_med3_i32 v9, v16, 0, 13
	v_and_or_b32 v11, v14, s10, v11
	v_or_b32_e32 v16, 0x1000, v7
	v_add_u32_e32 v13, 0xfffffc10, v13
	v_med3_i32 v14, v17, 0, 13
	v_cmp_ne_u32_e32 vcc, 0, v7
	v_or_b32_e32 v18, 0x1000, v11
	v_lshrrev_b32_e32 v20, v9, v16
	v_add_u32_e32 v15, 0xfffffc10, v15
	v_lshl_or_b32 v17, v13, 12, v7
	v_cndmask_b32_e64 v7, 0, 1, vcc
	v_cmp_ne_u32_e32 vcc, 0, v11
	v_lshrrev_b32_e32 v21, v14, v18
	v_lshlrev_b32_e32 v9, v9, v20
	v_lshl_or_b32 v19, v15, 12, v11
	v_cndmask_b32_e64 v11, 0, 1, vcc
	v_lshlrev_b32_e32 v14, v14, v21
	v_cmp_ne_u32_e32 vcc, v9, v16
	v_cndmask_b32_e64 v9, 0, 1, vcc
	v_cmp_ne_u32_e32 vcc, v14, v18
	v_cndmask_b32_e64 v14, 0, 1, vcc
	v_or_b32_e32 v9, v20, v9
	v_cmp_gt_i32_e32 vcc, 1, v13
	v_cndmask_b32_e32 v9, v17, v9, vcc
	v_or_b32_e32 v14, v21, v14
	v_cmp_gt_i32_e32 vcc, 1, v15
	v_and_b32_e32 v16, 7, v9
	v_cndmask_b32_e32 v14, v19, v14, vcc
	v_cmp_lt_i32_e32 vcc, 5, v16
	v_cmp_eq_u32_e64 s[0:1], 3, v16
	v_lshrrev_b32_e32 v9, 2, v9
	v_and_b32_e32 v17, 7, v14
	s_or_b64 vcc, s[0:1], vcc
	v_cmp_lt_i32_e64 s[2:3], 5, v17
	v_cmp_eq_u32_e64 s[4:5], 3, v17
	v_addc_co_u32_e32 v9, vcc, 0, v9, vcc
	v_lshrrev_b32_e32 v14, 2, v14
	s_or_b64 vcc, s[4:5], s[2:3]
	v_addc_co_u32_e32 v14, vcc, 0, v14, vcc
	v_cmp_gt_i32_e32 vcc, 31, v13
	v_cndmask_b32_e32 v9, v0, v9, vcc
	v_cmp_gt_i32_e32 vcc, 31, v15
	v_lshl_or_b32 v7, v7, 9, v0
	v_cndmask_b32_e32 v14, v0, v14, vcc
	v_cmp_eq_u32_e32 vcc, s18, v13
	v_lshrrev_b32_e32 v10, 16, v10
	v_lshl_or_b32 v11, v11, 9, v0
	v_cndmask_b32_e32 v7, v9, v7, vcc
	v_cmp_eq_u32_e32 vcc, s18, v15
	v_lshrrev_b32_e32 v12, 16, v12
	v_cndmask_b32_e32 v9, v14, v11, vcc
	v_and_or_b32 v7, v10, s17, v7
	v_and_or_b32 v9, v12, s17, v9
	v_and_b32_e32 v7, 0xffff, v7
	v_lshl_or_b32 v7, v9, 16, v7
	global_store_dword v[5:6], v7, off
	global_load_dword v7, v28, s[6:7] offset:880
	v_lshrrev_b32_e32 v9, 16, v8
	v_mov_b32_e32 v11, s12
	v_add_co_u32_e32 v5, vcc, s11, v5
	v_addc_co_u32_e32 v6, vcc, v6, v11, vcc
	s_waitcnt vmcnt(0)
	v_mul_f16_sdwa v10, v9, v7 dst_sel:DWORD dst_unused:UNUSED_PAD src0_sel:DWORD src1_sel:WORD_1
	v_fma_f16 v10, v8, v7, v10
	v_mul_f16_sdwa v8, v8, v7 dst_sel:DWORD dst_unused:UNUSED_PAD src0_sel:DWORD src1_sel:WORD_1
	v_cvt_f32_f16_e32 v10, v10
	v_fma_f16 v7, v7, v9, -v8
	v_cvt_f32_f16_e32 v9, v7
	v_cvt_f64_f32_e32 v[7:8], v10
	v_cvt_f64_f32_e32 v[9:10], v9
	v_mul_f64 v[7:8], v[7:8], s[14:15]
	v_mul_f64 v[9:10], v[9:10], s[14:15]
	v_and_or_b32 v7, v8, s16, v7
	v_cmp_ne_u32_e32 vcc, 0, v7
	v_and_or_b32 v9, v10, s16, v9
	v_lshrrev_b32_e32 v11, 8, v8
	v_bfe_u32 v12, v8, 20, 11
	v_cndmask_b32_e64 v7, 0, 1, vcc
	v_cmp_ne_u32_e32 vcc, 0, v9
	v_lshrrev_b32_e32 v13, 8, v10
	v_bfe_u32 v14, v10, 20, 11
	v_sub_u32_e32 v15, 0x3f1, v12
	v_cndmask_b32_e64 v9, 0, 1, vcc
	v_and_or_b32 v7, v11, s10, v7
	v_sub_u32_e32 v16, 0x3f1, v14
	v_med3_i32 v11, v15, 0, 13
	v_and_or_b32 v9, v13, s10, v9
	v_or_b32_e32 v15, 0x1000, v7
	v_add_u32_e32 v12, 0xfffffc10, v12
	v_med3_i32 v13, v16, 0, 13
	v_cmp_ne_u32_e32 vcc, 0, v7
	v_or_b32_e32 v17, 0x1000, v9
	v_lshrrev_b32_e32 v19, v11, v15
	v_add_u32_e32 v14, 0xfffffc10, v14
	v_lshl_or_b32 v16, v12, 12, v7
	v_cndmask_b32_e64 v7, 0, 1, vcc
	v_cmp_ne_u32_e32 vcc, 0, v9
	v_lshrrev_b32_e32 v20, v13, v17
	v_lshlrev_b32_e32 v11, v11, v19
	v_lshl_or_b32 v18, v14, 12, v9
	v_cndmask_b32_e64 v9, 0, 1, vcc
	v_lshlrev_b32_e32 v13, v13, v20
	v_cmp_ne_u32_e32 vcc, v11, v15
	v_cndmask_b32_e64 v11, 0, 1, vcc
	v_cmp_ne_u32_e32 vcc, v13, v17
	v_cndmask_b32_e64 v13, 0, 1, vcc
	v_or_b32_e32 v11, v19, v11
	v_cmp_gt_i32_e32 vcc, 1, v12
	v_cndmask_b32_e32 v11, v16, v11, vcc
	v_or_b32_e32 v13, v20, v13
	v_cmp_gt_i32_e32 vcc, 1, v14
	v_and_b32_e32 v15, 7, v11
	v_cndmask_b32_e32 v13, v18, v13, vcc
	v_cmp_lt_i32_e32 vcc, 5, v15
	v_cmp_eq_u32_e64 s[0:1], 3, v15
	v_lshrrev_b32_e32 v11, 2, v11
	v_and_b32_e32 v16, 7, v13
	s_or_b64 vcc, s[0:1], vcc
	v_cmp_lt_i32_e64 s[2:3], 5, v16
	v_cmp_eq_u32_e64 s[4:5], 3, v16
	v_addc_co_u32_e32 v11, vcc, 0, v11, vcc
	v_lshrrev_b32_e32 v13, 2, v13
	s_or_b64 vcc, s[4:5], s[2:3]
	v_addc_co_u32_e32 v13, vcc, 0, v13, vcc
	v_cmp_gt_i32_e32 vcc, 31, v12
	v_cndmask_b32_e32 v11, v0, v11, vcc
	v_cmp_gt_i32_e32 vcc, 31, v14
	v_lshl_or_b32 v7, v7, 9, v0
	v_cndmask_b32_e32 v13, v0, v13, vcc
	v_cmp_eq_u32_e32 vcc, s18, v12
	v_lshrrev_b32_e32 v8, 16, v8
	v_lshl_or_b32 v9, v9, 9, v0
	v_cndmask_b32_e32 v7, v11, v7, vcc
	v_cmp_eq_u32_e32 vcc, s18, v14
	v_lshrrev_b32_e32 v10, 16, v10
	v_cndmask_b32_e32 v9, v13, v9, vcc
	v_and_or_b32 v7, v8, s17, v7
	v_and_or_b32 v8, v10, s17, v9
	v_and_b32_e32 v7, 0xffff, v7
	v_lshl_or_b32 v7, v8, 16, v7
	global_store_dword v[5:6], v7, off
	global_load_dword v9, v28, s[6:7] offset:968
	ds_read2_b32 v[7:8], v4 offset0:114 offset1:136
	s_waitcnt lgkmcnt(0)
	v_lshrrev_b32_e32 v4, 16, v7
	s_waitcnt vmcnt(0)
	v_mul_f16_sdwa v10, v4, v9 dst_sel:DWORD dst_unused:UNUSED_PAD src0_sel:DWORD src1_sel:WORD_1
	v_fma_f16 v10, v7, v9, v10
	v_mul_f16_sdwa v7, v7, v9 dst_sel:DWORD dst_unused:UNUSED_PAD src0_sel:DWORD src1_sel:WORD_1
	v_cvt_f32_f16_e32 v10, v10
	v_fma_f16 v4, v9, v4, -v7
	v_cvt_f32_f16_e32 v4, v4
	v_mov_b32_e32 v7, s12
	v_cvt_f64_f32_e32 v[9:10], v10
	v_cvt_f64_f32_e32 v[11:12], v4
	v_add_co_u32_e32 v4, vcc, s11, v5
	v_mul_f64 v[9:10], v[9:10], s[14:15]
	v_mul_f64 v[11:12], v[11:12], s[14:15]
	v_addc_co_u32_e32 v5, vcc, v6, v7, vcc
	v_and_or_b32 v6, v10, s16, v9
	v_and_or_b32 v11, v12, s16, v11
	v_cmp_ne_u32_e32 vcc, 0, v6
	v_lshrrev_b32_e32 v7, 8, v10
	v_bfe_u32 v9, v10, 20, 11
	v_cndmask_b32_e64 v6, 0, 1, vcc
	v_cmp_ne_u32_e32 vcc, 0, v11
	v_lshrrev_b32_e32 v13, 8, v12
	v_bfe_u32 v14, v12, 20, 11
	v_sub_u32_e32 v15, 0x3f1, v9
	v_cndmask_b32_e64 v11, 0, 1, vcc
	v_and_or_b32 v6, v7, s10, v6
	v_sub_u32_e32 v16, 0x3f1, v14
	v_med3_i32 v7, v15, 0, 13
	v_and_or_b32 v11, v13, s10, v11
	v_or_b32_e32 v15, 0x1000, v6
	v_add_u32_e32 v9, 0xfffffc10, v9
	v_med3_i32 v13, v16, 0, 13
	v_cmp_ne_u32_e32 vcc, 0, v6
	v_or_b32_e32 v17, 0x1000, v11
	v_lshrrev_b32_e32 v19, v7, v15
	v_add_u32_e32 v14, 0xfffffc10, v14
	v_lshl_or_b32 v16, v9, 12, v6
	v_cndmask_b32_e64 v6, 0, 1, vcc
	v_cmp_ne_u32_e32 vcc, 0, v11
	v_lshrrev_b32_e32 v20, v13, v17
	v_lshlrev_b32_e32 v7, v7, v19
	v_lshl_or_b32 v18, v14, 12, v11
	v_cndmask_b32_e64 v11, 0, 1, vcc
	v_lshlrev_b32_e32 v13, v13, v20
	v_cmp_ne_u32_e32 vcc, v7, v15
	v_cndmask_b32_e64 v7, 0, 1, vcc
	v_cmp_ne_u32_e32 vcc, v13, v17
	v_cndmask_b32_e64 v13, 0, 1, vcc
	v_or_b32_e32 v7, v19, v7
	v_cmp_gt_i32_e32 vcc, 1, v9
	v_cndmask_b32_e32 v7, v16, v7, vcc
	v_or_b32_e32 v13, v20, v13
	v_cmp_gt_i32_e32 vcc, 1, v14
	v_and_b32_e32 v15, 7, v7
	v_cndmask_b32_e32 v13, v18, v13, vcc
	v_cmp_lt_i32_e32 vcc, 5, v15
	v_cmp_eq_u32_e64 s[0:1], 3, v15
	v_lshrrev_b32_e32 v7, 2, v7
	v_and_b32_e32 v16, 7, v13
	s_or_b64 vcc, s[0:1], vcc
	v_cmp_lt_i32_e64 s[2:3], 5, v16
	v_cmp_eq_u32_e64 s[4:5], 3, v16
	v_addc_co_u32_e32 v7, vcc, 0, v7, vcc
	v_lshrrev_b32_e32 v13, 2, v13
	s_or_b64 vcc, s[4:5], s[2:3]
	v_addc_co_u32_e32 v13, vcc, 0, v13, vcc
	v_cmp_gt_i32_e32 vcc, 31, v9
	v_cndmask_b32_e32 v7, v0, v7, vcc
	v_cmp_gt_i32_e32 vcc, 31, v14
	v_lshl_or_b32 v6, v6, 9, v0
	v_cndmask_b32_e32 v13, v0, v13, vcc
	v_cmp_eq_u32_e32 vcc, s18, v9
	v_lshrrev_b32_e32 v10, 16, v10
	v_lshl_or_b32 v11, v11, 9, v0
	v_cndmask_b32_e32 v6, v7, v6, vcc
	v_cmp_eq_u32_e32 vcc, s18, v14
	v_lshrrev_b32_e32 v12, 16, v12
	v_cndmask_b32_e32 v7, v13, v11, vcc
	v_and_or_b32 v6, v10, s17, v6
	v_and_or_b32 v7, v12, s17, v7
	v_and_b32_e32 v6, 0xffff, v6
	v_lshl_or_b32 v6, v7, 16, v6
	global_store_dword v[4:5], v6, off
	global_load_dword v6, v28, s[6:7] offset:1056
	v_lshrrev_b32_e32 v7, 16, v8
	v_mov_b32_e32 v10, s12
	v_add_co_u32_e32 v4, vcc, s11, v4
	v_addc_co_u32_e32 v5, vcc, v5, v10, vcc
	s_waitcnt vmcnt(0)
	v_mul_f16_sdwa v9, v7, v6 dst_sel:DWORD dst_unused:UNUSED_PAD src0_sel:DWORD src1_sel:WORD_1
	v_fma_f16 v9, v8, v6, v9
	v_mul_f16_sdwa v8, v8, v6 dst_sel:DWORD dst_unused:UNUSED_PAD src0_sel:DWORD src1_sel:WORD_1
	v_cvt_f32_f16_e32 v9, v9
	v_fma_f16 v6, v6, v7, -v8
	v_cvt_f32_f16_e32 v8, v6
	v_cvt_f64_f32_e32 v[6:7], v9
	v_cvt_f64_f32_e32 v[8:9], v8
	v_mul_f64 v[6:7], v[6:7], s[14:15]
	v_mul_f64 v[8:9], v[8:9], s[14:15]
	v_and_or_b32 v6, v7, s16, v6
	v_cmp_ne_u32_e32 vcc, 0, v6
	v_and_or_b32 v8, v9, s16, v8
	v_lshrrev_b32_e32 v10, 8, v7
	v_bfe_u32 v11, v7, 20, 11
	v_cndmask_b32_e64 v6, 0, 1, vcc
	v_cmp_ne_u32_e32 vcc, 0, v8
	v_lshrrev_b32_e32 v12, 8, v9
	v_bfe_u32 v13, v9, 20, 11
	v_sub_u32_e32 v14, 0x3f1, v11
	v_cndmask_b32_e64 v8, 0, 1, vcc
	v_and_or_b32 v6, v10, s10, v6
	v_sub_u32_e32 v15, 0x3f1, v13
	v_med3_i32 v10, v14, 0, 13
	v_and_or_b32 v8, v12, s10, v8
	v_or_b32_e32 v14, 0x1000, v6
	v_add_u32_e32 v11, 0xfffffc10, v11
	v_med3_i32 v12, v15, 0, 13
	v_cmp_ne_u32_e32 vcc, 0, v6
	v_or_b32_e32 v16, 0x1000, v8
	v_lshrrev_b32_e32 v18, v10, v14
	v_add_u32_e32 v13, 0xfffffc10, v13
	v_lshl_or_b32 v15, v11, 12, v6
	v_cndmask_b32_e64 v6, 0, 1, vcc
	v_cmp_ne_u32_e32 vcc, 0, v8
	v_lshrrev_b32_e32 v19, v12, v16
	v_lshlrev_b32_e32 v10, v10, v18
	v_lshl_or_b32 v17, v13, 12, v8
	v_cndmask_b32_e64 v8, 0, 1, vcc
	v_lshlrev_b32_e32 v12, v12, v19
	v_cmp_ne_u32_e32 vcc, v10, v14
	v_cndmask_b32_e64 v10, 0, 1, vcc
	v_cmp_ne_u32_e32 vcc, v12, v16
	v_cndmask_b32_e64 v12, 0, 1, vcc
	v_or_b32_e32 v10, v18, v10
	v_cmp_gt_i32_e32 vcc, 1, v11
	v_cndmask_b32_e32 v10, v15, v10, vcc
	v_or_b32_e32 v12, v19, v12
	v_cmp_gt_i32_e32 vcc, 1, v13
	v_and_b32_e32 v14, 7, v10
	v_cndmask_b32_e32 v12, v17, v12, vcc
	v_cmp_lt_i32_e32 vcc, 5, v14
	v_cmp_eq_u32_e64 s[0:1], 3, v14
	v_lshrrev_b32_e32 v10, 2, v10
	v_and_b32_e32 v15, 7, v12
	s_or_b64 vcc, s[0:1], vcc
	v_cmp_lt_i32_e64 s[2:3], 5, v15
	v_cmp_eq_u32_e64 s[4:5], 3, v15
	v_addc_co_u32_e32 v10, vcc, 0, v10, vcc
	v_lshrrev_b32_e32 v12, 2, v12
	s_or_b64 vcc, s[4:5], s[2:3]
	v_addc_co_u32_e32 v12, vcc, 0, v12, vcc
	v_cmp_gt_i32_e32 vcc, 31, v11
	v_cndmask_b32_e32 v10, v0, v10, vcc
	v_cmp_gt_i32_e32 vcc, 31, v13
	v_lshl_or_b32 v6, v6, 9, v0
	v_cndmask_b32_e32 v12, v0, v12, vcc
	v_cmp_eq_u32_e32 vcc, s18, v11
	v_lshrrev_b32_e32 v7, 16, v7
	v_lshl_or_b32 v8, v8, 9, v0
	v_cndmask_b32_e32 v6, v10, v6, vcc
	v_cmp_eq_u32_e32 vcc, s18, v13
	v_lshrrev_b32_e32 v9, 16, v9
	v_cndmask_b32_e32 v8, v12, v8, vcc
	v_and_or_b32 v6, v7, s17, v6
	v_and_or_b32 v7, v9, s17, v8
	v_and_b32_e32 v6, 0xffff, v6
	v_lshl_or_b32 v6, v7, 16, v6
	global_store_dword v[4:5], v6, off
	global_load_dword v8, v28, s[6:7] offset:1144
	ds_read2_b32 v[6:7], v3 offset0:30 offset1:52
	v_add_co_u32_e32 v4, vcc, s11, v4
	s_waitcnt lgkmcnt(0)
	v_lshrrev_b32_e32 v9, 16, v6
	s_waitcnt vmcnt(0)
	v_mul_f16_sdwa v10, v9, v8 dst_sel:DWORD dst_unused:UNUSED_PAD src0_sel:DWORD src1_sel:WORD_1
	v_fma_f16 v10, v6, v8, v10
	v_mul_f16_sdwa v6, v6, v8 dst_sel:DWORD dst_unused:UNUSED_PAD src0_sel:DWORD src1_sel:WORD_1
	v_cvt_f32_f16_e32 v10, v10
	v_fma_f16 v6, v8, v9, -v6
	v_cvt_f32_f16_e32 v6, v6
	v_cvt_f64_f32_e32 v[8:9], v10
	v_cvt_f64_f32_e32 v[10:11], v6
	v_mov_b32_e32 v6, s12
	v_mul_f64 v[8:9], v[8:9], s[14:15]
	v_addc_co_u32_e32 v5, vcc, v5, v6, vcc
	v_mul_f64 v[10:11], v[10:11], s[14:15]
	v_and_or_b32 v6, v9, s16, v8
	v_cmp_ne_u32_e32 vcc, 0, v6
	v_lshrrev_b32_e32 v8, 8, v9
	v_and_or_b32 v10, v11, s16, v10
	v_bfe_u32 v12, v9, 20, 11
	v_cndmask_b32_e64 v6, 0, 1, vcc
	v_cmp_ne_u32_e32 vcc, 0, v10
	v_lshrrev_b32_e32 v13, 8, v11
	v_bfe_u32 v14, v11, 20, 11
	v_sub_u32_e32 v15, 0x3f1, v12
	v_cndmask_b32_e64 v10, 0, 1, vcc
	v_and_or_b32 v6, v8, s10, v6
	v_sub_u32_e32 v16, 0x3f1, v14
	v_med3_i32 v8, v15, 0, 13
	v_and_or_b32 v10, v13, s10, v10
	v_or_b32_e32 v15, 0x1000, v6
	v_add_u32_e32 v12, 0xfffffc10, v12
	v_med3_i32 v13, v16, 0, 13
	v_cmp_ne_u32_e32 vcc, 0, v6
	v_or_b32_e32 v17, 0x1000, v10
	v_lshrrev_b32_e32 v19, v8, v15
	v_add_u32_e32 v14, 0xfffffc10, v14
	v_lshl_or_b32 v16, v12, 12, v6
	v_cndmask_b32_e64 v6, 0, 1, vcc
	v_cmp_ne_u32_e32 vcc, 0, v10
	v_lshrrev_b32_e32 v20, v13, v17
	v_lshlrev_b32_e32 v8, v8, v19
	v_lshl_or_b32 v18, v14, 12, v10
	v_cndmask_b32_e64 v10, 0, 1, vcc
	v_lshlrev_b32_e32 v13, v13, v20
	v_cmp_ne_u32_e32 vcc, v8, v15
	v_cndmask_b32_e64 v8, 0, 1, vcc
	v_cmp_ne_u32_e32 vcc, v13, v17
	v_cndmask_b32_e64 v13, 0, 1, vcc
	v_or_b32_e32 v8, v19, v8
	v_cmp_gt_i32_e32 vcc, 1, v12
	v_cndmask_b32_e32 v8, v16, v8, vcc
	v_or_b32_e32 v13, v20, v13
	v_cmp_gt_i32_e32 vcc, 1, v14
	v_and_b32_e32 v15, 7, v8
	v_cndmask_b32_e32 v13, v18, v13, vcc
	v_cmp_lt_i32_e32 vcc, 5, v15
	v_cmp_eq_u32_e64 s[0:1], 3, v15
	v_lshrrev_b32_e32 v8, 2, v8
	v_and_b32_e32 v16, 7, v13
	s_or_b64 vcc, s[0:1], vcc
	v_cmp_lt_i32_e64 s[2:3], 5, v16
	v_cmp_eq_u32_e64 s[4:5], 3, v16
	v_addc_co_u32_e32 v8, vcc, 0, v8, vcc
	v_lshrrev_b32_e32 v13, 2, v13
	s_or_b64 vcc, s[4:5], s[2:3]
	v_addc_co_u32_e32 v13, vcc, 0, v13, vcc
	v_cmp_gt_i32_e32 vcc, 31, v12
	v_cndmask_b32_e32 v8, v0, v8, vcc
	v_cmp_gt_i32_e32 vcc, 31, v14
	v_lshl_or_b32 v6, v6, 9, v0
	v_cndmask_b32_e32 v13, v0, v13, vcc
	v_cmp_eq_u32_e32 vcc, s18, v12
	v_lshrrev_b32_e32 v9, 16, v9
	v_lshl_or_b32 v10, v10, 9, v0
	v_cndmask_b32_e32 v6, v8, v6, vcc
	v_cmp_eq_u32_e32 vcc, s18, v14
	v_lshrrev_b32_e32 v11, 16, v11
	v_cndmask_b32_e32 v8, v13, v10, vcc
	v_and_or_b32 v6, v9, s17, v6
	v_and_or_b32 v8, v11, s17, v8
	v_and_b32_e32 v6, 0xffff, v6
	v_lshl_or_b32 v6, v8, 16, v6
	global_store_dword v[4:5], v6, off
	global_load_dword v6, v28, s[6:7] offset:1232
	v_lshrrev_b32_e32 v8, 16, v7
	v_mov_b32_e32 v10, s12
	v_add_co_u32_e32 v4, vcc, s11, v4
	v_addc_co_u32_e32 v5, vcc, v5, v10, vcc
	s_waitcnt vmcnt(0)
	v_mul_f16_sdwa v9, v8, v6 dst_sel:DWORD dst_unused:UNUSED_PAD src0_sel:DWORD src1_sel:WORD_1
	v_fma_f16 v9, v7, v6, v9
	v_mul_f16_sdwa v7, v7, v6 dst_sel:DWORD dst_unused:UNUSED_PAD src0_sel:DWORD src1_sel:WORD_1
	v_cvt_f32_f16_e32 v9, v9
	v_fma_f16 v6, v6, v8, -v7
	v_cvt_f32_f16_e32 v8, v6
	v_cvt_f64_f32_e32 v[6:7], v9
	v_cvt_f64_f32_e32 v[8:9], v8
	v_mul_f64 v[6:7], v[6:7], s[14:15]
	v_mul_f64 v[8:9], v[8:9], s[14:15]
	v_and_or_b32 v6, v7, s16, v6
	v_cmp_ne_u32_e32 vcc, 0, v6
	v_and_or_b32 v8, v9, s16, v8
	v_lshrrev_b32_e32 v10, 8, v7
	v_bfe_u32 v11, v7, 20, 11
	v_cndmask_b32_e64 v6, 0, 1, vcc
	v_cmp_ne_u32_e32 vcc, 0, v8
	v_lshrrev_b32_e32 v12, 8, v9
	v_bfe_u32 v13, v9, 20, 11
	v_sub_u32_e32 v14, 0x3f1, v11
	v_cndmask_b32_e64 v8, 0, 1, vcc
	v_and_or_b32 v6, v10, s10, v6
	v_sub_u32_e32 v15, 0x3f1, v13
	v_med3_i32 v10, v14, 0, 13
	v_and_or_b32 v8, v12, s10, v8
	v_or_b32_e32 v14, 0x1000, v6
	v_add_u32_e32 v11, 0xfffffc10, v11
	v_med3_i32 v12, v15, 0, 13
	v_cmp_ne_u32_e32 vcc, 0, v6
	v_or_b32_e32 v16, 0x1000, v8
	v_lshrrev_b32_e32 v18, v10, v14
	v_add_u32_e32 v13, 0xfffffc10, v13
	v_lshl_or_b32 v15, v11, 12, v6
	v_cndmask_b32_e64 v6, 0, 1, vcc
	v_cmp_ne_u32_e32 vcc, 0, v8
	v_lshrrev_b32_e32 v19, v12, v16
	v_lshlrev_b32_e32 v10, v10, v18
	v_lshl_or_b32 v17, v13, 12, v8
	v_cndmask_b32_e64 v8, 0, 1, vcc
	v_lshlrev_b32_e32 v12, v12, v19
	v_cmp_ne_u32_e32 vcc, v10, v14
	v_cndmask_b32_e64 v10, 0, 1, vcc
	v_cmp_ne_u32_e32 vcc, v12, v16
	v_cndmask_b32_e64 v12, 0, 1, vcc
	v_or_b32_e32 v10, v18, v10
	v_cmp_gt_i32_e32 vcc, 1, v11
	v_cndmask_b32_e32 v10, v15, v10, vcc
	v_or_b32_e32 v12, v19, v12
	v_cmp_gt_i32_e32 vcc, 1, v13
	v_and_b32_e32 v14, 7, v10
	v_cndmask_b32_e32 v12, v17, v12, vcc
	v_cmp_lt_i32_e32 vcc, 5, v14
	v_cmp_eq_u32_e64 s[0:1], 3, v14
	v_lshrrev_b32_e32 v10, 2, v10
	v_and_b32_e32 v15, 7, v12
	s_or_b64 vcc, s[0:1], vcc
	v_cmp_lt_i32_e64 s[2:3], 5, v15
	v_cmp_eq_u32_e64 s[4:5], 3, v15
	v_addc_co_u32_e32 v10, vcc, 0, v10, vcc
	v_lshrrev_b32_e32 v12, 2, v12
	s_or_b64 vcc, s[4:5], s[2:3]
	v_addc_co_u32_e32 v12, vcc, 0, v12, vcc
	v_cmp_gt_i32_e32 vcc, 31, v11
	v_cndmask_b32_e32 v10, v0, v10, vcc
	v_cmp_gt_i32_e32 vcc, 31, v13
	v_lshl_or_b32 v6, v6, 9, v0
	v_cndmask_b32_e32 v12, v0, v12, vcc
	v_cmp_eq_u32_e32 vcc, s18, v11
	v_lshrrev_b32_e32 v7, 16, v7
	v_lshl_or_b32 v8, v8, 9, v0
	v_cndmask_b32_e32 v6, v10, v6, vcc
	v_cmp_eq_u32_e32 vcc, s18, v13
	v_lshrrev_b32_e32 v9, 16, v9
	v_cndmask_b32_e32 v8, v12, v8, vcc
	v_and_or_b32 v6, v7, s17, v6
	v_and_or_b32 v7, v9, s17, v8
	v_and_b32_e32 v6, 0xffff, v6
	v_lshl_or_b32 v6, v7, 16, v6
	global_store_dword v[4:5], v6, off
	global_load_dword v8, v28, s[6:7] offset:1320
	ds_read2_b32 v[6:7], v3 offset0:74 offset1:96
	s_waitcnt lgkmcnt(0)
	v_lshrrev_b32_e32 v3, 16, v6
	s_waitcnt vmcnt(0)
	v_mul_f16_sdwa v9, v3, v8 dst_sel:DWORD dst_unused:UNUSED_PAD src0_sel:DWORD src1_sel:WORD_1
	v_fma_f16 v9, v6, v8, v9
	v_mul_f16_sdwa v6, v6, v8 dst_sel:DWORD dst_unused:UNUSED_PAD src0_sel:DWORD src1_sel:WORD_1
	v_cvt_f32_f16_e32 v9, v9
	v_fma_f16 v3, v8, v3, -v6
	v_cvt_f32_f16_e32 v3, v3
	v_mov_b32_e32 v6, s12
	v_cvt_f64_f32_e32 v[8:9], v9
	v_cvt_f64_f32_e32 v[10:11], v3
	v_add_co_u32_e32 v3, vcc, s11, v4
	v_mul_f64 v[8:9], v[8:9], s[14:15]
	v_mul_f64 v[10:11], v[10:11], s[14:15]
	v_addc_co_u32_e32 v4, vcc, v5, v6, vcc
	v_and_or_b32 v5, v9, s16, v8
	v_and_or_b32 v10, v11, s16, v10
	v_cmp_ne_u32_e32 vcc, 0, v5
	v_lshrrev_b32_e32 v6, 8, v9
	v_bfe_u32 v8, v9, 20, 11
	v_cndmask_b32_e64 v5, 0, 1, vcc
	v_cmp_ne_u32_e32 vcc, 0, v10
	v_lshrrev_b32_e32 v12, 8, v11
	v_bfe_u32 v13, v11, 20, 11
	v_sub_u32_e32 v14, 0x3f1, v8
	v_cndmask_b32_e64 v10, 0, 1, vcc
	v_and_or_b32 v5, v6, s10, v5
	v_sub_u32_e32 v15, 0x3f1, v13
	v_med3_i32 v6, v14, 0, 13
	v_and_or_b32 v10, v12, s10, v10
	v_or_b32_e32 v14, 0x1000, v5
	v_add_u32_e32 v8, 0xfffffc10, v8
	v_med3_i32 v12, v15, 0, 13
	v_cmp_ne_u32_e32 vcc, 0, v5
	v_or_b32_e32 v16, 0x1000, v10
	v_lshrrev_b32_e32 v18, v6, v14
	v_add_u32_e32 v13, 0xfffffc10, v13
	v_lshl_or_b32 v15, v8, 12, v5
	v_cndmask_b32_e64 v5, 0, 1, vcc
	v_cmp_ne_u32_e32 vcc, 0, v10
	v_lshrrev_b32_e32 v19, v12, v16
	v_lshlrev_b32_e32 v6, v6, v18
	v_lshl_or_b32 v17, v13, 12, v10
	v_cndmask_b32_e64 v10, 0, 1, vcc
	v_lshlrev_b32_e32 v12, v12, v19
	v_cmp_ne_u32_e32 vcc, v6, v14
	v_cndmask_b32_e64 v6, 0, 1, vcc
	v_cmp_ne_u32_e32 vcc, v12, v16
	v_cndmask_b32_e64 v12, 0, 1, vcc
	v_or_b32_e32 v6, v18, v6
	v_cmp_gt_i32_e32 vcc, 1, v8
	v_cndmask_b32_e32 v6, v15, v6, vcc
	v_or_b32_e32 v12, v19, v12
	v_cmp_gt_i32_e32 vcc, 1, v13
	v_and_b32_e32 v14, 7, v6
	v_cndmask_b32_e32 v12, v17, v12, vcc
	v_cmp_lt_i32_e32 vcc, 5, v14
	v_cmp_eq_u32_e64 s[0:1], 3, v14
	v_lshrrev_b32_e32 v6, 2, v6
	v_and_b32_e32 v15, 7, v12
	s_or_b64 vcc, s[0:1], vcc
	v_cmp_lt_i32_e64 s[2:3], 5, v15
	v_cmp_eq_u32_e64 s[4:5], 3, v15
	v_addc_co_u32_e32 v6, vcc, 0, v6, vcc
	v_lshrrev_b32_e32 v12, 2, v12
	s_or_b64 vcc, s[4:5], s[2:3]
	v_addc_co_u32_e32 v12, vcc, 0, v12, vcc
	v_cmp_gt_i32_e32 vcc, 31, v8
	v_cndmask_b32_e32 v6, v0, v6, vcc
	v_cmp_gt_i32_e32 vcc, 31, v13
	v_lshl_or_b32 v5, v5, 9, v0
	v_cndmask_b32_e32 v12, v0, v12, vcc
	v_cmp_eq_u32_e32 vcc, s18, v8
	v_lshrrev_b32_e32 v9, 16, v9
	v_lshl_or_b32 v10, v10, 9, v0
	v_cndmask_b32_e32 v5, v6, v5, vcc
	v_cmp_eq_u32_e32 vcc, s18, v13
	v_lshrrev_b32_e32 v11, 16, v11
	v_cndmask_b32_e32 v6, v12, v10, vcc
	v_and_or_b32 v5, v9, s17, v5
	v_and_or_b32 v6, v11, s17, v6
	v_and_b32_e32 v5, 0xffff, v5
	v_lshl_or_b32 v5, v6, 16, v5
	global_store_dword v[3:4], v5, off
	global_load_dword v5, v28, s[6:7] offset:1408
	v_lshrrev_b32_e32 v6, 16, v7
	v_or_b32_e32 v9, 0x160, v27
	v_mad_u64_u32 v[3:4], s[0:1], s8, v9, 0
	s_waitcnt vmcnt(0)
	v_mul_f16_sdwa v8, v6, v5 dst_sel:DWORD dst_unused:UNUSED_PAD src0_sel:DWORD src1_sel:WORD_1
	v_fma_f16 v8, v7, v5, v8
	v_cvt_f32_f16_e32 v8, v8
	v_mul_f16_sdwa v7, v7, v5 dst_sel:DWORD dst_unused:UNUSED_PAD src0_sel:DWORD src1_sel:WORD_1
	v_fma_f16 v5, v5, v6, -v7
	v_cvt_f32_f16_e32 v7, v5
	v_cvt_f64_f32_e32 v[5:6], v8
	v_cvt_f64_f32_e32 v[7:8], v7
	v_mul_f64 v[5:6], v[5:6], s[14:15]
	v_mul_f64 v[7:8], v[7:8], s[14:15]
	v_mad_u64_u32 v[9:10], s[0:1], s9, v9, v[4:5]
	v_and_or_b32 v5, v6, s16, v5
	v_and_or_b32 v7, v8, s16, v7
	v_cmp_ne_u32_e32 vcc, 0, v5
	v_mov_b32_e32 v4, v9
	v_lshrrev_b32_e32 v9, 8, v6
	v_bfe_u32 v10, v6, 20, 11
	v_cndmask_b32_e64 v5, 0, 1, vcc
	v_cmp_ne_u32_e32 vcc, 0, v7
	v_lshrrev_b32_e32 v11, 8, v8
	v_bfe_u32 v12, v8, 20, 11
	v_sub_u32_e32 v13, 0x3f1, v10
	v_cndmask_b32_e64 v7, 0, 1, vcc
	v_and_or_b32 v5, v9, s10, v5
	v_sub_u32_e32 v14, 0x3f1, v12
	v_med3_i32 v9, v13, 0, 13
	v_and_or_b32 v7, v11, s10, v7
	v_or_b32_e32 v13, 0x1000, v5
	v_add_u32_e32 v10, 0xfffffc10, v10
	v_med3_i32 v11, v14, 0, 13
	v_cmp_ne_u32_e32 vcc, 0, v5
	v_or_b32_e32 v15, 0x1000, v7
	v_lshrrev_b32_e32 v17, v9, v13
	v_add_u32_e32 v12, 0xfffffc10, v12
	v_lshl_or_b32 v14, v10, 12, v5
	v_cndmask_b32_e64 v5, 0, 1, vcc
	v_cmp_ne_u32_e32 vcc, 0, v7
	v_lshrrev_b32_e32 v18, v11, v15
	v_lshlrev_b32_e32 v9, v9, v17
	v_lshl_or_b32 v16, v12, 12, v7
	v_cndmask_b32_e64 v7, 0, 1, vcc
	v_lshlrev_b32_e32 v11, v11, v18
	v_cmp_ne_u32_e32 vcc, v9, v13
	v_cndmask_b32_e64 v9, 0, 1, vcc
	v_cmp_ne_u32_e32 vcc, v11, v15
	v_cndmask_b32_e64 v11, 0, 1, vcc
	v_or_b32_e32 v9, v17, v9
	v_cmp_gt_i32_e32 vcc, 1, v10
	v_cndmask_b32_e32 v9, v14, v9, vcc
	v_or_b32_e32 v11, v18, v11
	v_cmp_gt_i32_e32 vcc, 1, v12
	v_and_b32_e32 v13, 7, v9
	v_cndmask_b32_e32 v11, v16, v11, vcc
	v_cmp_lt_i32_e32 vcc, 5, v13
	v_cmp_eq_u32_e64 s[0:1], 3, v13
	v_lshrrev_b32_e32 v9, 2, v9
	v_and_b32_e32 v14, 7, v11
	s_or_b64 vcc, s[0:1], vcc
	v_cmp_lt_i32_e64 s[2:3], 5, v14
	v_cmp_eq_u32_e64 s[4:5], 3, v14
	v_addc_co_u32_e32 v9, vcc, 0, v9, vcc
	v_lshrrev_b32_e32 v11, 2, v11
	s_or_b64 vcc, s[4:5], s[2:3]
	v_addc_co_u32_e32 v11, vcc, 0, v11, vcc
	v_cmp_gt_i32_e32 vcc, 31, v10
	v_cndmask_b32_e32 v9, v0, v9, vcc
	v_cmp_gt_i32_e32 vcc, 31, v12
	v_lshl_or_b32 v5, v5, 9, v0
	v_lshl_or_b32 v7, v7, 9, v0
	v_cndmask_b32_e32 v0, v0, v11, vcc
	v_cmp_eq_u32_e32 vcc, s18, v10
	v_lshrrev_b32_e32 v6, 16, v6
	v_cndmask_b32_e32 v5, v9, v5, vcc
	v_cmp_eq_u32_e32 vcc, s18, v12
	v_lshlrev_b64 v[3:4], 2, v[3:4]
	v_lshrrev_b32_e32 v8, 16, v8
	v_cndmask_b32_e32 v0, v0, v7, vcc
	v_and_or_b32 v5, v6, s17, v5
	v_and_or_b32 v0, v8, s17, v0
	v_and_b32_e32 v5, 0xffff, v5
	v_lshl_or_b32 v5, v0, 16, v5
	v_add_co_u32_e32 v0, vcc, v1, v3
	v_addc_co_u32_e32 v1, vcc, v2, v4, vcc
	global_store_dword v[0:1], v5, off
.LBB0_23:
	s_endpgm
	.section	.rodata,"a",@progbits
	.p2align	6, 0x0
	.amdhsa_kernel bluestein_single_back_len374_dim1_half_op_CI_CI
		.amdhsa_group_segment_fixed_size 10472
		.amdhsa_private_segment_fixed_size 0
		.amdhsa_kernarg_size 104
		.amdhsa_user_sgpr_count 6
		.amdhsa_user_sgpr_private_segment_buffer 1
		.amdhsa_user_sgpr_dispatch_ptr 0
		.amdhsa_user_sgpr_queue_ptr 0
		.amdhsa_user_sgpr_kernarg_segment_ptr 1
		.amdhsa_user_sgpr_dispatch_id 0
		.amdhsa_user_sgpr_flat_scratch_init 0
		.amdhsa_user_sgpr_private_segment_size 0
		.amdhsa_uses_dynamic_stack 0
		.amdhsa_system_sgpr_private_segment_wavefront_offset 0
		.amdhsa_system_sgpr_workgroup_id_x 1
		.amdhsa_system_sgpr_workgroup_id_y 0
		.amdhsa_system_sgpr_workgroup_id_z 0
		.amdhsa_system_sgpr_workgroup_info 0
		.amdhsa_system_vgpr_workitem_id 0
		.amdhsa_next_free_vgpr 254
		.amdhsa_next_free_sgpr 39
		.amdhsa_reserve_vcc 1
		.amdhsa_reserve_flat_scratch 0
		.amdhsa_float_round_mode_32 0
		.amdhsa_float_round_mode_16_64 0
		.amdhsa_float_denorm_mode_32 3
		.amdhsa_float_denorm_mode_16_64 3
		.amdhsa_dx10_clamp 1
		.amdhsa_ieee_mode 1
		.amdhsa_fp16_overflow 0
		.amdhsa_exception_fp_ieee_invalid_op 0
		.amdhsa_exception_fp_denorm_src 0
		.amdhsa_exception_fp_ieee_div_zero 0
		.amdhsa_exception_fp_ieee_overflow 0
		.amdhsa_exception_fp_ieee_underflow 0
		.amdhsa_exception_fp_ieee_inexact 0
		.amdhsa_exception_int_div_zero 0
	.end_amdhsa_kernel
	.text
.Lfunc_end0:
	.size	bluestein_single_back_len374_dim1_half_op_CI_CI, .Lfunc_end0-bluestein_single_back_len374_dim1_half_op_CI_CI
                                        ; -- End function
	.section	.AMDGPU.csdata,"",@progbits
; Kernel info:
; codeLenInByte = 28896
; NumSgprs: 43
; NumVgprs: 254
; ScratchSize: 0
; MemoryBound: 0
; FloatMode: 240
; IeeeMode: 1
; LDSByteSize: 10472 bytes/workgroup (compile time only)
; SGPRBlocks: 5
; VGPRBlocks: 63
; NumSGPRsForWavesPerEU: 43
; NumVGPRsForWavesPerEU: 254
; Occupancy: 1
; WaveLimiterHint : 1
; COMPUTE_PGM_RSRC2:SCRATCH_EN: 0
; COMPUTE_PGM_RSRC2:USER_SGPR: 6
; COMPUTE_PGM_RSRC2:TRAP_HANDLER: 0
; COMPUTE_PGM_RSRC2:TGID_X_EN: 1
; COMPUTE_PGM_RSRC2:TGID_Y_EN: 0
; COMPUTE_PGM_RSRC2:TGID_Z_EN: 0
; COMPUTE_PGM_RSRC2:TIDIG_COMP_CNT: 0
	.type	__hip_cuid_7fadecd5e2c783ba,@object ; @__hip_cuid_7fadecd5e2c783ba
	.section	.bss,"aw",@nobits
	.globl	__hip_cuid_7fadecd5e2c783ba
__hip_cuid_7fadecd5e2c783ba:
	.byte	0                               ; 0x0
	.size	__hip_cuid_7fadecd5e2c783ba, 1

	.ident	"AMD clang version 19.0.0git (https://github.com/RadeonOpenCompute/llvm-project roc-6.4.0 25133 c7fe45cf4b819c5991fe208aaa96edf142730f1d)"
	.section	".note.GNU-stack","",@progbits
	.addrsig
	.addrsig_sym __hip_cuid_7fadecd5e2c783ba
	.amdgpu_metadata
---
amdhsa.kernels:
  - .args:
      - .actual_access:  read_only
        .address_space:  global
        .offset:         0
        .size:           8
        .value_kind:     global_buffer
      - .actual_access:  read_only
        .address_space:  global
        .offset:         8
        .size:           8
        .value_kind:     global_buffer
      - .actual_access:  read_only
        .address_space:  global
        .offset:         16
        .size:           8
        .value_kind:     global_buffer
      - .actual_access:  read_only
        .address_space:  global
        .offset:         24
        .size:           8
        .value_kind:     global_buffer
      - .actual_access:  read_only
        .address_space:  global
        .offset:         32
        .size:           8
        .value_kind:     global_buffer
      - .offset:         40
        .size:           8
        .value_kind:     by_value
      - .address_space:  global
        .offset:         48
        .size:           8
        .value_kind:     global_buffer
      - .address_space:  global
        .offset:         56
        .size:           8
        .value_kind:     global_buffer
      - .address_space:  global
        .offset:         64
        .size:           8
        .value_kind:     global_buffer
      - .address_space:  global
        .offset:         72
        .size:           8
        .value_kind:     global_buffer
      - .offset:         80
        .size:           4
        .value_kind:     by_value
      - .address_space:  global
        .offset:         88
        .size:           8
        .value_kind:     global_buffer
      - .address_space:  global
        .offset:         96
        .size:           8
        .value_kind:     global_buffer
    .group_segment_fixed_size: 10472
    .kernarg_segment_align: 8
    .kernarg_segment_size: 104
    .language:       OpenCL C
    .language_version:
      - 2
      - 0
    .max_flat_workgroup_size: 238
    .name:           bluestein_single_back_len374_dim1_half_op_CI_CI
    .private_segment_fixed_size: 0
    .sgpr_count:     43
    .sgpr_spill_count: 0
    .symbol:         bluestein_single_back_len374_dim1_half_op_CI_CI.kd
    .uniform_work_group_size: 1
    .uses_dynamic_stack: false
    .vgpr_count:     254
    .vgpr_spill_count: 0
    .wavefront_size: 64
amdhsa.target:   amdgcn-amd-amdhsa--gfx906
amdhsa.version:
  - 1
  - 2
...

	.end_amdgpu_metadata
